;; amdgpu-corpus repo=ROCm/rocFFT kind=compiled arch=gfx90a opt=O3
	.text
	.amdgcn_target "amdgcn-amd-amdhsa--gfx90a"
	.amdhsa_code_object_version 6
	.protected	bluestein_single_fwd_len2430_dim1_dp_op_CI_CI ; -- Begin function bluestein_single_fwd_len2430_dim1_dp_op_CI_CI
	.globl	bluestein_single_fwd_len2430_dim1_dp_op_CI_CI
	.p2align	8
	.type	bluestein_single_fwd_len2430_dim1_dp_op_CI_CI,@function
bluestein_single_fwd_len2430_dim1_dp_op_CI_CI: ; @bluestein_single_fwd_len2430_dim1_dp_op_CI_CI
; %bb.0:
	s_load_dwordx4 s[12:15], s[4:5], 0x28
	s_mov_b64 s[38:39], s[2:3]
	s_mov_b64 s[36:37], s[0:1]
	v_mul_u32_u24_e32 v1, 0x32a, v0
	s_add_u32 s36, s36, s7
	v_add_u32_sdwa v2, s6, v1 dst_sel:DWORD dst_unused:UNUSED_PAD src0_sel:DWORD src1_sel:WORD_1
	v_mov_b32_e32 v3, 0
	s_addc_u32 s37, s37, 0
	s_movk_i32 s27, 0x32a
	s_waitcnt lgkmcnt(0)
	v_cmp_gt_u64_e32 vcc, s[12:13], v[2:3]
	s_and_saveexec_b64 s[0:1], vcc
	s_cbranch_execz .LBB0_2
; %bb.1:
	s_movk_i32 s16, 0x51
	s_load_dwordx4 s[8:11], s[4:5], 0x0
	s_load_dwordx4 s[20:23], s[4:5], 0x18
	s_load_dwordx2 s[12:13], s[4:5], 0x38
	v_mul_lo_u16_sdwa v1, v1, s16 dst_sel:DWORD dst_unused:UNUSED_PAD src0_sel:WORD_1 src1_sel:DWORD
	v_sub_u16_e32 v211, v0, v1
	v_lshlrev_b32_e32 v177, 4, v211
	s_waitcnt lgkmcnt(0)
	global_load_dwordx4 v[10:13], v177, s[8:9]
	s_load_dwordx4 s[0:3], s[22:23], 0x0
	v_mov_b32_e32 v179, 0xf30
	s_movk_i32 s28, 0x1000
	s_movk_i32 s29, 0x2000
	;; [unrolled: 1-line block ×3, first 2 shown]
	s_waitcnt lgkmcnt(0)
	v_mad_u64_u32 v[4:5], s[4:5], s2, v2, 0
	s_load_dwordx4 s[4:7], s[20:21], 0x0
	v_mov_b32_e32 v0, v5
	v_mad_u64_u32 v[0:1], s[2:3], s3, v2, v[0:1]
	v_mov_b32_e32 v5, v0
	v_accvgpr_write_b32 a255, v5
	s_waitcnt lgkmcnt(0)
	v_mad_u64_u32 v[0:1], s[2:3], s6, v2, 0
	v_accvgpr_write_b32 a254, v4
	v_mov_b32_e32 v4, v1
	v_mad_u64_u32 v[2:3], s[2:3], s7, v2, v[4:5]
	v_mov_b32_e32 v1, v2
	v_mad_u64_u32 v[2:3], s[2:3], s4, v211, 0
	;; [unrolled: 2-line block ×3, first 2 shown]
	v_lshlrev_b64 v[0:1], 4, v[0:1]
	v_mov_b32_e32 v3, v4
	v_add_co_u32_e32 v4, vcc, s14, v0
	v_mov_b32_e32 v0, s15
	v_addc_co_u32_e32 v5, vcc, v0, v1, vcc
	v_lshlrev_b64 v[0:1], 4, v[2:3]
	v_add_co_u32_e32 v8, vcc, v4, v0
	v_addc_co_u32_e32 v9, vcc, v5, v1, vcc
	global_load_dwordx4 v[0:3], v[8:9], off
	v_add_co_u32_e32 v178, vcc, s8, v177
	v_mov_b32_e32 v4, s9
	v_addc_co_u32_e32 v176, vcc, 0, v4, vcc
	s_movk_i32 s2, 0xf3
	v_add_co_u32_e32 v187, vcc, s2, v211
	v_addc_co_u32_e64 v174, s[2:3], 0, 0, vcc
	v_mad_u64_u32 v[8:9], s[2:3], s4, v179, v[8:9]
	s_mul_i32 s2, s5, 0xf30
	v_add_u32_e32 v9, s2, v9
	s_movk_i32 s3, 0x1e6
	v_add_co_u32_e32 v183, vcc, s3, v211
	s_movk_i32 s3, 0x2d9
                                        ; kill: killed $sgpr8_sgpr9
	s_mov_b32 s17, 0xbfee6f0e
	s_mov_b32 s14, 0x372fe950
	;; [unrolled: 1-line block ×10, first 2 shown]
	s_movk_i32 s30, 0x89
	v_mov_b32_e32 v236, v211
	s_waitcnt vmcnt(1)
	buffer_store_dword v10, off, s[36:39], 0 offset:20 ; 4-byte Folded Spill
	s_nop 0
	buffer_store_dword v11, off, s[36:39], 0 offset:24 ; 4-byte Folded Spill
	buffer_store_dword v12, off, s[36:39], 0 offset:28 ; 4-byte Folded Spill
	;; [unrolled: 1-line block ×3, first 2 shown]
	s_waitcnt vmcnt(4)
	v_mul_f64 v[4:5], v[2:3], v[12:13]
	v_fmac_f64_e32 v[4:5], v[0:1], v[10:11]
	v_mul_f64 v[0:1], v[0:1], v[12:13]
	v_fma_f64 v[6:7], v[2:3], v[10:11], -v[0:1]
	ds_write_b128 v177, v[4:7]
	global_load_dwordx4 v[0:3], v[8:9], off
	global_load_dwordx4 v[10:13], v177, s[8:9] offset:3888
	v_mad_u64_u32 v[8:9], s[6:7], s4, v179, v[8:9]
	v_add_u32_e32 v9, s2, v9
	s_waitcnt vmcnt(0)
	buffer_store_dword v10, off, s[36:39], 0 offset:36 ; 4-byte Folded Spill
	s_nop 0
	buffer_store_dword v11, off, s[36:39], 0 offset:40 ; 4-byte Folded Spill
	buffer_store_dword v12, off, s[36:39], 0 offset:44 ; 4-byte Folded Spill
	buffer_store_dword v13, off, s[36:39], 0 offset:48 ; 4-byte Folded Spill
	v_mul_f64 v[4:5], v[2:3], v[12:13]
	v_fmac_f64_e32 v[4:5], v[0:1], v[10:11]
	v_mul_f64 v[0:1], v[0:1], v[12:13]
	v_add_co_u32_e32 v12, vcc, s28, v178
	v_addc_co_u32_e32 v13, vcc, 0, v176, vcc
	global_load_dwordx4 v[14:17], v[12:13], off offset:3680
	v_fma_f64 v[6:7], v[2:3], v[10:11], -v[0:1]
	global_load_dwordx4 v[0:3], v[8:9], off
	ds_write_b128 v177, v[4:7] offset:3888
	v_add_co_u32_e32 v181, vcc, s3, v211
	s_movk_i32 s3, 0x4000
                                        ; kill: killed $vgpr12 killed $vgpr13
	s_waitcnt vmcnt(1)
	buffer_store_dword v14, off, s[36:39], 0 offset:84 ; 4-byte Folded Spill
	s_nop 0
	buffer_store_dword v15, off, s[36:39], 0 offset:88 ; 4-byte Folded Spill
	buffer_store_dword v16, off, s[36:39], 0 offset:92 ; 4-byte Folded Spill
	;; [unrolled: 1-line block ×3, first 2 shown]
	s_waitcnt vmcnt(4)
	v_mul_f64 v[4:5], v[2:3], v[16:17]
	v_fmac_f64_e32 v[4:5], v[0:1], v[14:15]
	v_mul_f64 v[0:1], v[0:1], v[16:17]
	v_fma_f64 v[6:7], v[2:3], v[14:15], -v[0:1]
	ds_write_b128 v177, v[4:7] offset:7776
	v_add_co_u32_e32 v6, vcc, s29, v178
	v_addc_co_u32_e32 v7, vcc, 0, v176, vcc
	global_load_dwordx4 v[14:17], v[6:7], off offset:3472
	v_mad_u64_u32 v[4:5], s[6:7], s4, v179, v[8:9]
	v_add_u32_e32 v5, s2, v5
	global_load_dwordx4 v[0:3], v[4:5], off
	v_mad_u64_u32 v[4:5], s[6:7], s4, v179, v[4:5]
	v_add_u32_e32 v5, s2, v5
	s_waitcnt vmcnt(1)
	buffer_store_dword v14, off, s[36:39], 0 offset:116 ; 4-byte Folded Spill
	s_nop 0
	buffer_store_dword v15, off, s[36:39], 0 offset:120 ; 4-byte Folded Spill
	buffer_store_dword v16, off, s[36:39], 0 offset:124 ; 4-byte Folded Spill
	;; [unrolled: 1-line block ×3, first 2 shown]
	s_waitcnt vmcnt(4)
	v_mul_f64 v[8:9], v[2:3], v[16:17]
	v_fmac_f64_e32 v[8:9], v[0:1], v[14:15]
	v_mul_f64 v[0:1], v[0:1], v[16:17]
	v_fma_f64 v[10:11], v[2:3], v[14:15], -v[0:1]
	v_add_co_u32_e32 v14, vcc, s26, v178
	v_addc_co_u32_e32 v15, vcc, 0, v176, vcc
	global_load_dwordx4 v[16:19], v[14:15], off offset:3264
	global_load_dwordx4 v[0:3], v[4:5], off
	ds_write_b128 v177, v[8:11] offset:11664
	s_waitcnt vmcnt(1)
	buffer_store_dword v16, off, s[36:39], 0 offset:348 ; 4-byte Folded Spill
	s_nop 0
	buffer_store_dword v17, off, s[36:39], 0 offset:352 ; 4-byte Folded Spill
	buffer_store_dword v18, off, s[36:39], 0 offset:356 ; 4-byte Folded Spill
	;; [unrolled: 1-line block ×3, first 2 shown]
	s_waitcnt vmcnt(4)
	v_mul_f64 v[8:9], v[2:3], v[18:19]
	v_fmac_f64_e32 v[8:9], v[0:1], v[16:17]
	v_mul_f64 v[0:1], v[0:1], v[18:19]
	v_fma_f64 v[10:11], v[2:3], v[16:17], -v[0:1]
	v_mad_u64_u32 v[16:17], s[6:7], s4, v179, v[4:5]
	v_add_co_u32_e32 v4, vcc, s3, v178
	v_addc_co_u32_e32 v5, vcc, 0, v176, vcc
	global_load_dwordx4 v[18:21], v[4:5], off offset:3056
	v_add_u32_e32 v17, s2, v17
	global_load_dwordx4 v[0:3], v[16:17], off
	ds_write_b128 v177, v[8:11] offset:15552
	s_movk_i32 s3, 0x5000
	s_waitcnt vmcnt(1)
	buffer_store_dword v18, off, s[36:39], 0 offset:444 ; 4-byte Folded Spill
	s_nop 0
	buffer_store_dword v19, off, s[36:39], 0 offset:448 ; 4-byte Folded Spill
	buffer_store_dword v20, off, s[36:39], 0 offset:452 ; 4-byte Folded Spill
	;; [unrolled: 1-line block ×3, first 2 shown]
	s_waitcnt vmcnt(4)
	v_mul_f64 v[8:9], v[2:3], v[20:21]
	v_fmac_f64_e32 v[8:9], v[0:1], v[18:19]
	v_mul_f64 v[0:1], v[0:1], v[20:21]
	v_fma_f64 v[10:11], v[2:3], v[18:19], -v[0:1]
	ds_write_b128 v177, v[8:11] offset:19440
	v_add_co_u32_e32 v10, vcc, s3, v178
	v_addc_co_u32_e32 v11, vcc, 0, v176, vcc
	global_load_dwordx4 v[18:21], v[10:11], off offset:2848
	v_mad_u64_u32 v[8:9], s[6:7], s4, v179, v[16:17]
	v_add_u32_e32 v9, s2, v9
	global_load_dwordx4 v[0:3], v[8:9], off
	s_movk_i32 s3, 0x6000
	s_waitcnt vmcnt(1)
	buffer_store_dword v18, off, s[36:39], 0 offset:476 ; 4-byte Folded Spill
	s_nop 0
	buffer_store_dword v19, off, s[36:39], 0 offset:480 ; 4-byte Folded Spill
	buffer_store_dword v20, off, s[36:39], 0 offset:484 ; 4-byte Folded Spill
	buffer_store_dword v21, off, s[36:39], 0 offset:488 ; 4-byte Folded Spill
	s_waitcnt vmcnt(4)
	v_mul_f64 v[16:17], v[2:3], v[20:21]
	v_fmac_f64_e32 v[16:17], v[0:1], v[18:19]
	v_mul_f64 v[0:1], v[0:1], v[20:21]
	v_fma_f64 v[18:19], v[2:3], v[18:19], -v[0:1]
	v_add_co_u32_e32 v2, vcc, s3, v178
	v_addc_co_u32_e32 v3, vcc, 0, v176, vcc
	global_load_dwordx4 v[22:25], v[2:3], off offset:2640
	v_mad_u64_u32 v[0:1], s[6:7], s4, v179, v[8:9]
	v_add_u32_e32 v1, s2, v1
	ds_write_b128 v177, v[16:19] offset:23328
	global_load_dwordx4 v[16:19], v[0:1], off
	s_movk_i32 s3, 0x7000
	v_mad_u64_u32 v[0:1], s[6:7], s4, v179, v[0:1]
	v_add_u32_e32 v1, s2, v1
	s_waitcnt vmcnt(1)
	buffer_store_dword v22, off, s[36:39], 0 offset:492 ; 4-byte Folded Spill
	s_nop 0
	buffer_store_dword v23, off, s[36:39], 0 offset:496 ; 4-byte Folded Spill
	buffer_store_dword v24, off, s[36:39], 0 offset:500 ; 4-byte Folded Spill
	;; [unrolled: 1-line block ×3, first 2 shown]
	s_waitcnt vmcnt(4)
	v_mul_f64 v[20:21], v[18:19], v[24:25]
	v_mul_f64 v[8:9], v[16:17], v[24:25]
	v_fmac_f64_e32 v[20:21], v[16:17], v[22:23]
	v_fma_f64 v[22:23], v[18:19], v[22:23], -v[8:9]
	v_add_co_u32_e32 v8, vcc, s3, v178
	v_addc_co_u32_e32 v9, vcc, 0, v176, vcc
	ds_write_b128 v177, v[20:23] offset:27216
	global_load_dwordx4 v[22:25], v[8:9], off offset:2432
	global_load_dwordx4 v[16:19], v[0:1], off
	s_mov_b32 s3, 0x8000
	s_waitcnt vmcnt(1)
	buffer_store_dword v22, off, s[36:39], 0 offset:560 ; 4-byte Folded Spill
	s_nop 0
	buffer_store_dword v23, off, s[36:39], 0 offset:564 ; 4-byte Folded Spill
	buffer_store_dword v24, off, s[36:39], 0 offset:568 ; 4-byte Folded Spill
	;; [unrolled: 1-line block ×3, first 2 shown]
	s_waitcnt vmcnt(4)
	v_mul_f64 v[20:21], v[18:19], v[24:25]
	v_fmac_f64_e32 v[20:21], v[16:17], v[22:23]
	v_mul_f64 v[16:17], v[16:17], v[24:25]
	v_mad_u64_u32 v[24:25], s[6:7], s4, v179, v[0:1]
	v_add_co_u32_e32 v0, vcc, s3, v178
	v_addc_co_u32_e32 v1, vcc, 0, v176, vcc
	global_load_dwordx4 v[26:29], v[0:1], off offset:2224
	v_add_u32_e32 v25, s2, v25
	v_fma_f64 v[22:23], v[18:19], v[22:23], -v[16:17]
	global_load_dwordx4 v[16:19], v[24:25], off
	ds_write_b128 v177, v[20:23] offset:31104
	s_mul_i32 s3, s5, 0xffff7c60
	s_sub_i32 s3, s3, s4
	v_add_co_u32_e32 v175, vcc, s16, v211
	s_movk_i32 s5, 0x144
	v_addc_co_u32_e64 v190, s[6:7], 0, 0, vcc
	v_add_co_u32_e32 v186, vcc, s5, v211
	s_movk_i32 s5, 0x237
	v_add_co_u32_e32 v180, vcc, s5, v211
	s_movk_i32 s5, 0xa2
	v_add_co_u32_e32 v189, vcc, s5, v211
	s_waitcnt vmcnt(1)
	buffer_store_dword v26, off, s[36:39], 0 offset:576 ; 4-byte Folded Spill
	s_nop 0
	buffer_store_dword v27, off, s[36:39], 0 offset:580 ; 4-byte Folded Spill
	buffer_store_dword v28, off, s[36:39], 0 offset:584 ; 4-byte Folded Spill
	;; [unrolled: 1-line block ×3, first 2 shown]
	s_waitcnt vmcnt(4)
	v_mul_f64 v[20:21], v[18:19], v[28:29]
	v_fmac_f64_e32 v[20:21], v[16:17], v[26:27]
	v_mul_f64 v[16:17], v[16:17], v[28:29]
	v_fma_f64 v[22:23], v[18:19], v[26:27], -v[16:17]
	v_mov_b32_e32 v16, 0xffff7c60
	v_mad_u64_u32 v[24:25], s[6:7], s4, v16, v[24:25]
	ds_write_b128 v177, v[20:23] offset:34992
	v_add_u32_e32 v25, s3, v25
	global_load_dwordx4 v[16:19], v[24:25], off
	global_load_dwordx4 v[28:31], v177, s[8:9] offset:1296
	v_mad_u64_u32 v[24:25], s[6:7], s4, v179, v[24:25]
	v_add_u32_e32 v25, s2, v25
	v_mov_b32_e32 v26, 0xffff7c60
	s_waitcnt vmcnt(0)
	buffer_store_dword v28, off, s[36:39], 0 offset:52 ; 4-byte Folded Spill
	s_nop 0
	buffer_store_dword v29, off, s[36:39], 0 offset:56 ; 4-byte Folded Spill
	buffer_store_dword v30, off, s[36:39], 0 offset:60 ; 4-byte Folded Spill
	buffer_store_dword v31, off, s[36:39], 0 offset:64 ; 4-byte Folded Spill
	v_mul_f64 v[20:21], v[18:19], v[30:31]
	v_fmac_f64_e32 v[20:21], v[16:17], v[28:29]
	v_mul_f64 v[16:17], v[16:17], v[30:31]
	v_fma_f64 v[22:23], v[18:19], v[28:29], -v[16:17]
	ds_write_b128 v177, v[20:23] offset:1296
	global_load_dwordx4 v[16:19], v[24:25], off
	global_load_dwordx4 v[28:31], v[12:13], off offset:1088
	v_mad_u64_u32 v[24:25], s[6:7], s4, v179, v[24:25]
	v_add_u32_e32 v25, s2, v25
	s_waitcnt vmcnt(0)
	buffer_store_dword v28, off, s[36:39], 0 offset:68 ; 4-byte Folded Spill
	s_nop 0
	buffer_store_dword v29, off, s[36:39], 0 offset:72 ; 4-byte Folded Spill
	buffer_store_dword v30, off, s[36:39], 0 offset:76 ; 4-byte Folded Spill
	buffer_store_dword v31, off, s[36:39], 0 offset:80 ; 4-byte Folded Spill
	v_mul_f64 v[20:21], v[18:19], v[30:31]
	v_fmac_f64_e32 v[20:21], v[16:17], v[28:29]
	v_mul_f64 v[16:17], v[16:17], v[30:31]
	v_fma_f64 v[22:23], v[18:19], v[28:29], -v[16:17]
	ds_write_b128 v177, v[20:23] offset:5184
	global_load_dwordx4 v[16:19], v[24:25], off
	global_load_dwordx4 v[28:31], v[6:7], off offset:880
	v_mad_u64_u32 v[24:25], s[6:7], s4, v179, v[24:25]
	v_add_u32_e32 v25, s2, v25
	s_waitcnt vmcnt(0)
	buffer_store_dword v28, off, s[36:39], 0 offset:100 ; 4-byte Folded Spill
	s_nop 0
	buffer_store_dword v29, off, s[36:39], 0 offset:104 ; 4-byte Folded Spill
	buffer_store_dword v30, off, s[36:39], 0 offset:108 ; 4-byte Folded Spill
	buffer_store_dword v31, off, s[36:39], 0 offset:112 ; 4-byte Folded Spill
	v_mul_f64 v[20:21], v[18:19], v[30:31]
	v_fmac_f64_e32 v[20:21], v[16:17], v[28:29]
	v_mul_f64 v[16:17], v[16:17], v[30:31]
	v_fma_f64 v[22:23], v[18:19], v[28:29], -v[16:17]
	ds_write_b128 v177, v[20:23] offset:9072
	global_load_dwordx4 v[16:19], v[24:25], off
	global_load_dwordx4 v[28:31], v[14:15], off offset:672
	v_mad_u64_u32 v[24:25], s[6:7], s4, v179, v[24:25]
	v_add_u32_e32 v25, s2, v25
	s_waitcnt vmcnt(0)
	buffer_store_dword v28, off, s[36:39], 0 offset:428 ; 4-byte Folded Spill
	s_nop 0
	buffer_store_dword v29, off, s[36:39], 0 offset:432 ; 4-byte Folded Spill
	buffer_store_dword v30, off, s[36:39], 0 offset:436 ; 4-byte Folded Spill
	buffer_store_dword v31, off, s[36:39], 0 offset:440 ; 4-byte Folded Spill
	v_mul_f64 v[20:21], v[18:19], v[30:31]
	v_fmac_f64_e32 v[20:21], v[16:17], v[28:29]
	v_mul_f64 v[16:17], v[16:17], v[30:31]
	v_fma_f64 v[22:23], v[18:19], v[28:29], -v[16:17]
	ds_write_b128 v177, v[20:23] offset:12960
	global_load_dwordx4 v[16:19], v[24:25], off
	global_load_dwordx4 v[28:31], v[4:5], off offset:464
	v_mad_u64_u32 v[24:25], s[6:7], s4, v179, v[24:25]
	v_add_u32_e32 v25, s2, v25
	s_waitcnt vmcnt(0)
	buffer_store_dword v28, off, s[36:39], 0 offset:412 ; 4-byte Folded Spill
	s_nop 0
	buffer_store_dword v29, off, s[36:39], 0 offset:416 ; 4-byte Folded Spill
	buffer_store_dword v30, off, s[36:39], 0 offset:420 ; 4-byte Folded Spill
	buffer_store_dword v31, off, s[36:39], 0 offset:424 ; 4-byte Folded Spill
	v_mul_f64 v[20:21], v[18:19], v[30:31]
	v_fmac_f64_e32 v[20:21], v[16:17], v[28:29]
	v_mul_f64 v[16:17], v[16:17], v[30:31]
	v_fma_f64 v[22:23], v[18:19], v[28:29], -v[16:17]
	ds_write_b128 v177, v[20:23] offset:16848
	global_load_dwordx4 v[16:19], v[24:25], off
	global_load_dwordx4 v[28:31], v[10:11], off offset:256
	v_mad_u64_u32 v[24:25], s[6:7], s4, v179, v[24:25]
	v_add_u32_e32 v25, s2, v25
	s_waitcnt vmcnt(0)
	buffer_store_dword v28, off, s[36:39], 0 offset:396 ; 4-byte Folded Spill
	s_nop 0
	buffer_store_dword v29, off, s[36:39], 0 offset:400 ; 4-byte Folded Spill
	buffer_store_dword v30, off, s[36:39], 0 offset:404 ; 4-byte Folded Spill
	buffer_store_dword v31, off, s[36:39], 0 offset:408 ; 4-byte Folded Spill
	v_mul_f64 v[20:21], v[18:19], v[30:31]
	v_fmac_f64_e32 v[20:21], v[16:17], v[28:29]
	v_mul_f64 v[16:17], v[16:17], v[30:31]
	v_fma_f64 v[22:23], v[18:19], v[28:29], -v[16:17]
	ds_write_b128 v177, v[20:23] offset:20736
	global_load_dwordx4 v[16:19], v[24:25], off
	global_load_dwordx4 v[28:31], v[2:3], off offset:48
	v_mad_u64_u32 v[24:25], s[6:7], s4, v179, v[24:25]
	v_add_u32_e32 v25, s2, v25
	s_waitcnt vmcnt(0)
	buffer_store_dword v28, off, s[36:39], 0 offset:380 ; 4-byte Folded Spill
	s_nop 0
	buffer_store_dword v29, off, s[36:39], 0 offset:384 ; 4-byte Folded Spill
	buffer_store_dword v30, off, s[36:39], 0 offset:388 ; 4-byte Folded Spill
	buffer_store_dword v31, off, s[36:39], 0 offset:392 ; 4-byte Folded Spill
	v_mul_f64 v[20:21], v[18:19], v[30:31]
	v_fmac_f64_e32 v[20:21], v[16:17], v[28:29]
	v_mul_f64 v[16:17], v[16:17], v[30:31]
	v_fma_f64 v[22:23], v[18:19], v[28:29], -v[16:17]
	ds_write_b128 v177, v[20:23] offset:24624
	global_load_dwordx4 v[16:19], v[24:25], off
	global_load_dwordx4 v[28:31], v[2:3], off offset:3936
	v_mad_u64_u32 v[24:25], s[6:7], s4, v179, v[24:25]
	v_add_u32_e32 v25, s2, v25
	s_waitcnt vmcnt(0)
	buffer_store_dword v28, off, s[36:39], 0 offset:364 ; 4-byte Folded Spill
	s_nop 0
	buffer_store_dword v29, off, s[36:39], 0 offset:368 ; 4-byte Folded Spill
	buffer_store_dword v30, off, s[36:39], 0 offset:372 ; 4-byte Folded Spill
	buffer_store_dword v31, off, s[36:39], 0 offset:376 ; 4-byte Folded Spill
	v_mul_f64 v[20:21], v[18:19], v[30:31]
	v_fmac_f64_e32 v[20:21], v[16:17], v[28:29]
	v_mul_f64 v[16:17], v[16:17], v[30:31]
	v_fma_f64 v[22:23], v[18:19], v[28:29], -v[16:17]
	ds_write_b128 v177, v[20:23] offset:28512
	global_load_dwordx4 v[16:19], v[24:25], off
	global_load_dwordx4 v[28:31], v[8:9], off offset:3728
	v_mad_u64_u32 v[24:25], s[6:7], s4, v179, v[24:25]
	v_add_u32_e32 v25, s2, v25
	s_waitcnt vmcnt(0)
	buffer_store_dword v28, off, s[36:39], 0 offset:332 ; 4-byte Folded Spill
	s_nop 0
	buffer_store_dword v29, off, s[36:39], 0 offset:336 ; 4-byte Folded Spill
	buffer_store_dword v30, off, s[36:39], 0 offset:340 ; 4-byte Folded Spill
	buffer_store_dword v31, off, s[36:39], 0 offset:344 ; 4-byte Folded Spill
	v_mul_f64 v[20:21], v[18:19], v[30:31]
	v_fmac_f64_e32 v[20:21], v[16:17], v[28:29]
	v_mul_f64 v[16:17], v[16:17], v[30:31]
	v_fma_f64 v[22:23], v[18:19], v[28:29], -v[16:17]
	ds_write_b128 v177, v[20:23] offset:32400
	global_load_dwordx4 v[16:19], v[24:25], off
	global_load_dwordx4 v[28:31], v[0:1], off offset:3520
	v_mad_u64_u32 v[24:25], s[6:7], s4, v26, v[24:25]
	v_add_u32_e32 v25, s3, v25
	s_movk_i32 s3, 0x195
	v_add_co_u32_e32 v188, vcc, s3, v211
	s_movk_i32 s3, 0x288
	v_add_co_u32_e32 v185, vcc, s3, v211
	s_waitcnt vmcnt(0)
	buffer_store_dword v28, off, s[36:39], 0 offset:316 ; 4-byte Folded Spill
	s_nop 0
	buffer_store_dword v29, off, s[36:39], 0 offset:320 ; 4-byte Folded Spill
	buffer_store_dword v30, off, s[36:39], 0 offset:324 ; 4-byte Folded Spill
	buffer_store_dword v31, off, s[36:39], 0 offset:328 ; 4-byte Folded Spill
	v_mul_f64 v[20:21], v[18:19], v[30:31]
	v_fmac_f64_e32 v[20:21], v[16:17], v[28:29]
	v_mul_f64 v[16:17], v[16:17], v[30:31]
	v_fma_f64 v[22:23], v[18:19], v[28:29], -v[16:17]
	ds_write_b128 v177, v[20:23] offset:36288
	global_load_dwordx4 v[16:19], v[24:25], off
	global_load_dwordx4 v[26:29], v177, s[8:9] offset:2592
	v_mad_u64_u32 v[24:25], s[6:7], s4, v179, v[24:25]
	v_add_u32_e32 v25, s2, v25
	s_mov_b32 s8, 0x134454ff
	s_mov_b32 s9, 0x3fee6f0e
	;; [unrolled: 1-line block ×3, first 2 shown]
	s_waitcnt vmcnt(0)
	buffer_store_dword v26, off, s[36:39], 0 offset:184 ; 4-byte Folded Spill
	s_nop 0
	buffer_store_dword v27, off, s[36:39], 0 offset:188 ; 4-byte Folded Spill
	buffer_store_dword v28, off, s[36:39], 0 offset:192 ; 4-byte Folded Spill
	;; [unrolled: 1-line block ×3, first 2 shown]
	v_mul_f64 v[20:21], v[18:19], v[28:29]
	v_fmac_f64_e32 v[20:21], v[16:17], v[26:27]
	v_mul_f64 v[16:17], v[16:17], v[28:29]
	v_fma_f64 v[22:23], v[18:19], v[26:27], -v[16:17]
	ds_write_b128 v177, v[20:23] offset:2592
	global_load_dwordx4 v[16:19], v[24:25], off
	global_load_dwordx4 v[26:29], v[12:13], off offset:2384
	s_waitcnt vmcnt(0)
	buffer_store_dword v26, off, s[36:39], 0 offset:236 ; 4-byte Folded Spill
	s_nop 0
	buffer_store_dword v27, off, s[36:39], 0 offset:240 ; 4-byte Folded Spill
	buffer_store_dword v28, off, s[36:39], 0 offset:244 ; 4-byte Folded Spill
	buffer_store_dword v29, off, s[36:39], 0 offset:248 ; 4-byte Folded Spill
	v_mul_f64 v[20:21], v[18:19], v[28:29]
	v_mul_f64 v[12:13], v[16:17], v[28:29]
	v_fmac_f64_e32 v[20:21], v[16:17], v[26:27]
	v_fma_f64 v[22:23], v[18:19], v[26:27], -v[12:13]
	v_mad_u64_u32 v[12:13], s[6:7], s4, v179, v[24:25]
	ds_write_b128 v177, v[20:23] offset:6480
	v_add_u32_e32 v13, s2, v13
	global_load_dwordx4 v[16:19], v[12:13], off
	global_load_dwordx4 v[22:25], v[6:7], off offset:2176
	s_waitcnt vmcnt(0)
	buffer_store_dword v22, off, s[36:39], 0 offset:300 ; 4-byte Folded Spill
	s_nop 0
	buffer_store_dword v23, off, s[36:39], 0 offset:304 ; 4-byte Folded Spill
	buffer_store_dword v24, off, s[36:39], 0 offset:308 ; 4-byte Folded Spill
	buffer_store_dword v25, off, s[36:39], 0 offset:312 ; 4-byte Folded Spill
	v_mul_f64 v[20:21], v[18:19], v[24:25]
	v_mul_f64 v[6:7], v[16:17], v[24:25]
	v_fmac_f64_e32 v[20:21], v[16:17], v[22:23]
	v_fma_f64 v[22:23], v[18:19], v[22:23], -v[6:7]
	v_mad_u64_u32 v[6:7], s[6:7], s4, v179, v[12:13]
	ds_write_b128 v177, v[20:23] offset:10368
	v_add_u32_e32 v7, s2, v7
	;; [unrolled: 15-line block ×4, first 2 shown]
	global_load_dwordx4 v[4:7], v[14:15], off
	global_load_dwordx4 v[16:19], v[10:11], off offset:1552
	s_waitcnt vmcnt(0)
	buffer_store_dword v16, off, s[36:39], 0 offset:252 ; 4-byte Folded Spill
	s_nop 0
	buffer_store_dword v17, off, s[36:39], 0 offset:256 ; 4-byte Folded Spill
	buffer_store_dword v18, off, s[36:39], 0 offset:260 ; 4-byte Folded Spill
	;; [unrolled: 1-line block ×3, first 2 shown]
	v_mul_f64 v[10:11], v[6:7], v[18:19]
	v_fmac_f64_e32 v[10:11], v[4:5], v[16:17]
	v_mul_f64 v[4:5], v[4:5], v[18:19]
	v_fma_f64 v[12:13], v[6:7], v[16:17], -v[4:5]
	ds_write_b128 v177, v[10:13] offset:22032
	v_mad_u64_u32 v[10:11], s[6:7], s4, v179, v[14:15]
	v_add_u32_e32 v11, s2, v11
	global_load_dwordx4 v[4:7], v[10:11], off
	global_load_dwordx4 v[12:15], v[2:3], off offset:1344
	v_mad_u64_u32 v[10:11], s[6:7], s4, v179, v[10:11]
	s_waitcnt vmcnt(0)
	buffer_store_dword v12, off, s[36:39], 0 offset:220 ; 4-byte Folded Spill
	s_nop 0
	buffer_store_dword v13, off, s[36:39], 0 offset:224 ; 4-byte Folded Spill
	buffer_store_dword v14, off, s[36:39], 0 offset:228 ; 4-byte Folded Spill
	;; [unrolled: 1-line block ×3, first 2 shown]
	v_add_u32_e32 v11, s2, v11
	v_mul_f64 v[2:3], v[6:7], v[14:15]
	v_fmac_f64_e32 v[2:3], v[4:5], v[12:13]
	v_mul_f64 v[4:5], v[4:5], v[14:15]
	v_fma_f64 v[4:5], v[6:7], v[12:13], -v[4:5]
	ds_write_b128 v177, v[2:5] offset:25920
	global_load_dwordx4 v[2:5], v[10:11], off
	global_load_dwordx4 v[12:15], v[8:9], off offset:1136
	s_waitcnt vmcnt(0)
	buffer_store_dword v12, off, s[36:39], 0 offset:204 ; 4-byte Folded Spill
	s_nop 0
	buffer_store_dword v13, off, s[36:39], 0 offset:208 ; 4-byte Folded Spill
	buffer_store_dword v14, off, s[36:39], 0 offset:212 ; 4-byte Folded Spill
	;; [unrolled: 1-line block ×3, first 2 shown]
	v_mul_f64 v[6:7], v[4:5], v[14:15]
	v_fmac_f64_e32 v[6:7], v[2:3], v[12:13]
	v_mul_f64 v[2:3], v[2:3], v[14:15]
	v_fma_f64 v[8:9], v[4:5], v[12:13], -v[2:3]
	ds_write_b128 v177, v[6:9] offset:29808
	v_mad_u64_u32 v[6:7], s[6:7], s4, v179, v[10:11]
	v_add_u32_e32 v7, s2, v7
	global_load_dwordx4 v[2:5], v[6:7], off
	global_load_dwordx4 v[8:11], v[0:1], off offset:928
	s_waitcnt vmcnt(0)
	buffer_store_dword v8, off, s[36:39], 0 offset:136 ; 4-byte Folded Spill
	s_nop 0
	buffer_store_dword v9, off, s[36:39], 0 offset:140 ; 4-byte Folded Spill
	buffer_store_dword v10, off, s[36:39], 0 offset:144 ; 4-byte Folded Spill
	;; [unrolled: 1-line block ×3, first 2 shown]
	s_mov_b32 s6, 0x4755a5e
	s_mov_b32 s7, 0x3fe2cf23
	;; [unrolled: 1-line block ×3, first 2 shown]
	v_mul_f64 v[0:1], v[4:5], v[10:11]
	v_fmac_f64_e32 v[0:1], v[2:3], v[8:9]
	v_mul_f64 v[2:3], v[2:3], v[10:11]
	v_fma_f64 v[2:3], v[4:5], v[8:9], -v[2:3]
	ds_write_b128 v177, v[0:3] offset:33696
	v_mad_u64_u32 v[0:1], s[4:5], s4, v179, v[6:7]
	v_add_u32_e32 v1, s2, v1
	s_mov_b32 s2, 0x9000
	v_add_co_u32_e32 v8, vcc, s2, v178
	v_addc_co_u32_e32 v9, vcc, 0, v176, vcc
	global_load_dwordx4 v[4:7], v[8:9], off offset:720
	v_accvgpr_write_b32 a37, v9
	global_load_dwordx4 v[0:3], v[0:1], off
	v_accvgpr_write_b32 a36, v8
	s_movk_i32 s2, 0xcd
	s_mov_b32 s5, 0xbfebb67a
	s_waitcnt vmcnt(1)
	v_pk_mov_b32 v[8:9], v[6:7], v[6:7] op_sel:[0,1]
	v_pk_mov_b32 v[6:7], v[4:5], v[4:5] op_sel:[0,1]
	s_waitcnt vmcnt(0)
	v_mul_f64 v[4:5], v[2:3], v[8:9]
	v_fmac_f64_e32 v[4:5], v[0:1], v[6:7]
	v_mul_f64 v[0:1], v[0:1], v[8:9]
	buffer_store_dword v6, off, s[36:39], 0 offset:460 ; 4-byte Folded Spill
	s_nop 0
	buffer_store_dword v7, off, s[36:39], 0 offset:464 ; 4-byte Folded Spill
	buffer_store_dword v8, off, s[36:39], 0 offset:468 ; 4-byte Folded Spill
	;; [unrolled: 1-line block ×3, first 2 shown]
	v_fma_f64 v[6:7], v[2:3], v[6:7], -v[0:1]
	ds_write_b128 v177, v[4:7] offset:37584
	s_waitcnt lgkmcnt(0)
	s_barrier
	ds_read_b128 v[32:35], v177
	ds_read_b128 v[18:21], v177 offset:3888
	ds_read_b128 v[22:25], v177 offset:7776
	ds_read_b128 v[0:3], v177 offset:11664
	ds_read_b128 v[26:29], v177 offset:15552
	ds_read_b128 v[4:7], v177 offset:19440
	ds_read_b128 v[36:39], v177 offset:23328
	ds_read_b128 v[8:11], v177 offset:27216
	ds_read_b128 v[124:127], v177 offset:31104
	ds_read_b128 v[12:15], v177 offset:34992
	ds_read_b128 v[80:83], v177 offset:1296
	ds_read_b128 v[86:89], v177 offset:5184
	ds_read_b128 v[90:93], v177 offset:9072
	ds_read_b128 v[64:67], v177 offset:12960
	ds_read_b128 v[94:97], v177 offset:16848
	ds_read_b128 v[68:71], v177 offset:20736
	ds_read_b128 v[98:101], v177 offset:24624
	ds_read_b128 v[72:75], v177 offset:28512
	ds_read_b128 v[120:123], v177 offset:32400
	ds_read_b128 v[76:79], v177 offset:36288
	ds_read_b128 v[40:43], v177 offset:2592
	ds_read_b128 v[44:47], v177 offset:6480
	ds_read_b128 v[104:107], v177 offset:10368
	ds_read_b128 v[48:51], v177 offset:14256
	ds_read_b128 v[108:111], v177 offset:18144
	ds_read_b128 v[52:55], v177 offset:22032
	ds_read_b128 v[112:115], v177 offset:25920
	ds_read_b128 v[56:59], v177 offset:29808
	ds_read_b128 v[116:119], v177 offset:33696
	ds_read_b128 v[60:63], v177 offset:37584
	s_waitcnt lgkmcnt(14)
	v_add_f64 v[16:17], v[32:33], v[22:23]
	v_add_f64 v[16:17], v[16:17], v[26:27]
	;; [unrolled: 1-line block ×5, first 2 shown]
	v_fma_f64 v[30:31], -0.5, v[16:17], v[32:33]
	v_add_f64 v[16:17], v[24:25], -v[126:127]
	v_fma_f64 v[102:103], s[8:9], v[16:17], v[30:31]
	v_add_f64 v[128:129], v[28:29], -v[38:39]
	v_add_f64 v[130:131], v[22:23], -v[26:27]
	v_add_f64 v[132:133], v[124:125], -v[36:37]
	v_fmac_f64_e32 v[30:31], s[16:17], v[16:17]
	v_fmac_f64_e32 v[102:103], s[6:7], v[128:129]
	v_add_f64 v[130:131], v[130:131], v[132:133]
	v_fmac_f64_e32 v[30:31], s[18:19], v[128:129]
	v_fmac_f64_e32 v[102:103], s[14:15], v[130:131]
	v_fmac_f64_e32 v[30:31], s[14:15], v[130:131]
	v_add_f64 v[130:131], v[22:23], v[124:125]
	v_fmac_f64_e32 v[32:33], -0.5, v[130:131]
	v_fma_f64 v[132:133], s[16:17], v[128:129], v[32:33]
	v_fmac_f64_e32 v[32:33], s[8:9], v[128:129]
	v_fmac_f64_e32 v[132:133], s[6:7], v[16:17]
	v_fmac_f64_e32 v[32:33], s[18:19], v[16:17]
	v_add_f64 v[16:17], v[34:35], v[24:25]
	v_add_f64 v[130:131], v[26:27], -v[22:23]
	v_add_f64 v[134:135], v[36:37], -v[124:125]
	v_add_f64 v[16:17], v[16:17], v[28:29]
	v_add_f64 v[130:131], v[130:131], v[134:135]
	v_add_f64 v[16:17], v[16:17], v[38:39]
	v_fmac_f64_e32 v[132:133], s[14:15], v[130:131]
	v_fmac_f64_e32 v[32:33], s[14:15], v[130:131]
	v_add_f64 v[130:131], v[16:17], v[126:127]
	v_add_f64 v[16:17], v[28:29], v[38:39]
	v_fma_f64 v[128:129], -0.5, v[16:17], v[34:35]
	v_add_f64 v[16:17], v[22:23], -v[124:125]
	v_fma_f64 v[22:23], s[16:17], v[16:17], v[128:129]
	v_add_f64 v[26:27], v[26:27], -v[36:37]
	v_add_f64 v[36:37], v[24:25], -v[28:29]
	v_add_f64 v[124:125], v[126:127], -v[38:39]
	v_fmac_f64_e32 v[128:129], s[8:9], v[16:17]
	v_fmac_f64_e32 v[22:23], s[18:19], v[26:27]
	v_add_f64 v[36:37], v[36:37], v[124:125]
	v_fmac_f64_e32 v[128:129], s[6:7], v[26:27]
	v_fmac_f64_e32 v[22:23], s[14:15], v[36:37]
	v_fmac_f64_e32 v[128:129], s[14:15], v[36:37]
	v_add_f64 v[36:37], v[24:25], v[126:127]
	v_fmac_f64_e32 v[34:35], -0.5, v[36:37]
	v_fma_f64 v[124:125], s[8:9], v[26:27], v[34:35]
	v_fmac_f64_e32 v[34:35], s[16:17], v[26:27]
	v_fmac_f64_e32 v[124:125], s[18:19], v[16:17]
	v_fmac_f64_e32 v[34:35], s[6:7], v[16:17]
	v_add_f64 v[16:17], v[18:19], v[0:1]
	v_add_f64 v[24:25], v[28:29], -v[24:25]
	v_add_f64 v[28:29], v[38:39], -v[126:127]
	v_add_f64 v[16:17], v[16:17], v[4:5]
	v_add_f64 v[24:25], v[24:25], v[28:29]
	v_add_f64 v[16:17], v[16:17], v[8:9]
	v_fmac_f64_e32 v[124:125], s[14:15], v[24:25]
	v_fmac_f64_e32 v[34:35], s[14:15], v[24:25]
	v_add_f64 v[24:25], v[16:17], v[12:13]
	v_add_f64 v[16:17], v[4:5], v[8:9]
	;; [unrolled: 28-line block ×3, first 2 shown]
	v_fma_f64 v[36:37], -0.5, v[16:17], v[20:21]
	v_add_f64 v[0:1], v[0:1], -v[12:13]
	v_fma_f64 v[134:135], s[16:17], v[0:1], v[36:37]
	v_add_f64 v[4:5], v[4:5], -v[8:9]
	v_add_f64 v[8:9], v[2:3], -v[6:7]
	;; [unrolled: 1-line block ×3, first 2 shown]
	v_fmac_f64_e32 v[36:37], s[8:9], v[0:1]
	v_fmac_f64_e32 v[134:135], s[18:19], v[4:5]
	v_add_f64 v[8:9], v[8:9], v[12:13]
	v_fmac_f64_e32 v[36:37], s[6:7], v[4:5]
	v_fmac_f64_e32 v[134:135], s[14:15], v[8:9]
	;; [unrolled: 1-line block ×3, first 2 shown]
	v_add_f64 v[8:9], v[2:3], v[14:15]
	v_fmac_f64_e32 v[20:21], -0.5, v[8:9]
	v_fma_f64 v[136:137], s[8:9], v[4:5], v[20:21]
	v_add_f64 v[2:3], v[6:7], -v[2:3]
	v_add_f64 v[6:7], v[10:11], -v[14:15]
	v_fmac_f64_e32 v[136:137], s[18:19], v[0:1]
	v_add_f64 v[2:3], v[2:3], v[6:7]
	v_fmac_f64_e32 v[20:21], s[16:17], v[4:5]
	v_fmac_f64_e32 v[136:137], s[14:15], v[2:3]
	;; [unrolled: 1-line block ×3, first 2 shown]
	v_add_f64 v[8:9], v[84:85], v[24:25]
	v_mul_f64 v[138:139], v[28:29], s[24:25]
	v_mul_f64 v[146:147], v[28:29], s[18:19]
	v_add_f64 v[28:29], v[84:85], -v[24:25]
	v_add_f64 v[84:85], v[80:81], v[90:91]
	v_fmac_f64_e32 v[20:21], s[14:15], v[2:3]
	v_mul_f64 v[140:141], v[136:137], s[8:9]
	v_mul_f64 v[142:143], v[18:19], s[22:23]
	;; [unrolled: 1-line block ×3, first 2 shown]
	v_add_f64 v[84:85], v[84:85], v[94:95]
	v_fmac_f64_e32 v[140:141], s[14:15], v[38:39]
	v_fmac_f64_e32 v[142:143], s[8:9], v[20:21]
	;; [unrolled: 1-line block ×3, first 2 shown]
	v_mul_f64 v[38:39], v[38:39], s[16:17]
	s_waitcnt lgkmcnt(13)
	v_add_f64 v[84:85], v[84:85], v[98:99]
	v_fmac_f64_e32 v[138:139], s[6:7], v[134:135]
	v_add_f64 v[16:17], v[32:33], v[142:143]
	v_add_f64 v[12:13], v[30:31], v[144:145]
	v_add_f64 v[10:11], v[130:131], v[126:127]
	v_fmac_f64_e32 v[146:147], s[24:25], v[134:135]
	v_fmac_f64_e32 v[38:39], s[14:15], v[136:137]
	v_mul_f64 v[134:135], v[20:21], s[22:23]
	v_mul_f64 v[136:137], v[36:37], s[20:21]
	v_add_f64 v[36:37], v[32:33], -v[142:143]
	v_add_f64 v[32:33], v[30:31], -v[144:145]
	;; [unrolled: 1-line block ×3, first 2 shown]
	s_waitcnt lgkmcnt(11)
	v_add_f64 v[126:127], v[84:85], v[120:121]
	v_add_f64 v[84:85], v[94:95], v[98:99]
	;; [unrolled: 1-line block ×3, first 2 shown]
	v_fmac_f64_e32 v[134:135], s[16:17], v[18:19]
	v_fmac_f64_e32 v[136:137], s[18:19], v[26:27]
	v_add_f64 v[24:25], v[102:103], -v[138:139]
	v_fma_f64 v[102:103], -0.5, v[84:85], v[80:81]
	v_add_f64 v[84:85], v[92:93], -v[122:123]
	v_add_f64 v[0:1], v[132:133], v[140:141]
	v_add_f64 v[6:7], v[22:23], v[146:147]
	;; [unrolled: 1-line block ×5, first 2 shown]
	v_add_f64 v[20:21], v[132:133], -v[140:141]
	v_add_f64 v[26:27], v[22:23], -v[146:147]
	;; [unrolled: 1-line block ×5, first 2 shown]
	v_fma_f64 v[130:131], s[8:9], v[84:85], v[102:103]
	v_add_f64 v[124:125], v[96:97], -v[100:101]
	v_add_f64 v[128:129], v[90:91], -v[94:95]
	v_add_f64 v[132:133], v[120:121], -v[98:99]
	v_fmac_f64_e32 v[102:103], s[16:17], v[84:85]
	v_fmac_f64_e32 v[130:131], s[6:7], v[124:125]
	v_add_f64 v[128:129], v[128:129], v[132:133]
	v_fmac_f64_e32 v[102:103], s[18:19], v[124:125]
	v_fmac_f64_e32 v[130:131], s[14:15], v[128:129]
	;; [unrolled: 1-line block ×3, first 2 shown]
	v_add_f64 v[128:129], v[90:91], v[120:121]
	v_fmac_f64_e32 v[80:81], -0.5, v[128:129]
	v_fma_f64 v[132:133], s[16:17], v[124:125], v[80:81]
	v_fmac_f64_e32 v[80:81], s[8:9], v[124:125]
	v_fmac_f64_e32 v[132:133], s[6:7], v[84:85]
	v_fmac_f64_e32 v[80:81], s[18:19], v[84:85]
	v_add_f64 v[84:85], v[82:83], v[92:93]
	v_add_f64 v[128:129], v[94:95], -v[90:91]
	v_add_f64 v[134:135], v[98:99], -v[120:121]
	v_add_f64 v[84:85], v[84:85], v[96:97]
	v_add_f64 v[128:129], v[128:129], v[134:135]
	v_add_f64 v[84:85], v[84:85], v[100:101]
	v_fmac_f64_e32 v[132:133], s[14:15], v[128:129]
	v_fmac_f64_e32 v[80:81], s[14:15], v[128:129]
	v_add_f64 v[128:129], v[84:85], v[122:123]
	v_add_f64 v[84:85], v[96:97], v[100:101]
	v_fma_f64 v[124:125], -0.5, v[84:85], v[82:83]
	v_add_f64 v[84:85], v[90:91], -v[120:121]
	v_fma_f64 v[90:91], s[16:17], v[84:85], v[124:125]
	v_add_f64 v[94:95], v[94:95], -v[98:99]
	v_add_f64 v[98:99], v[92:93], -v[96:97]
	;; [unrolled: 1-line block ×3, first 2 shown]
	v_fmac_f64_e32 v[124:125], s[8:9], v[84:85]
	v_fmac_f64_e32 v[90:91], s[18:19], v[94:95]
	v_add_f64 v[98:99], v[98:99], v[120:121]
	v_fmac_f64_e32 v[124:125], s[6:7], v[94:95]
	v_fmac_f64_e32 v[90:91], s[14:15], v[98:99]
	;; [unrolled: 1-line block ×3, first 2 shown]
	v_add_f64 v[98:99], v[92:93], v[122:123]
	v_fmac_f64_e32 v[82:83], -0.5, v[98:99]
	v_fma_f64 v[120:121], s[8:9], v[94:95], v[82:83]
	v_fmac_f64_e32 v[82:83], s[16:17], v[94:95]
	v_fmac_f64_e32 v[120:121], s[18:19], v[84:85]
	;; [unrolled: 1-line block ×3, first 2 shown]
	v_add_f64 v[84:85], v[86:87], v[64:65]
	v_add_f64 v[92:93], v[96:97], -v[92:93]
	v_add_f64 v[96:97], v[100:101], -v[122:123]
	v_add_f64 v[84:85], v[84:85], v[68:69]
	v_add_f64 v[92:93], v[92:93], v[96:97]
	;; [unrolled: 1-line block ×3, first 2 shown]
	v_fmac_f64_e32 v[120:121], s[14:15], v[92:93]
	v_fmac_f64_e32 v[82:83], s[14:15], v[92:93]
	s_waitcnt lgkmcnt(10)
	v_add_f64 v[92:93], v[84:85], v[76:77]
	v_add_f64 v[84:85], v[68:69], v[72:73]
	v_fma_f64 v[94:95], -0.5, v[84:85], v[86:87]
	v_add_f64 v[84:85], v[66:67], -v[78:79]
	v_fma_f64 v[96:97], s[8:9], v[84:85], v[94:95]
	v_add_f64 v[98:99], v[70:71], -v[74:75]
	v_add_f64 v[100:101], v[64:65], -v[68:69]
	;; [unrolled: 1-line block ×3, first 2 shown]
	v_fmac_f64_e32 v[94:95], s[16:17], v[84:85]
	v_fmac_f64_e32 v[96:97], s[6:7], v[98:99]
	v_add_f64 v[100:101], v[100:101], v[122:123]
	v_fmac_f64_e32 v[94:95], s[18:19], v[98:99]
	v_fmac_f64_e32 v[96:97], s[14:15], v[100:101]
	;; [unrolled: 1-line block ×3, first 2 shown]
	v_add_f64 v[100:101], v[64:65], v[76:77]
	v_fmac_f64_e32 v[86:87], -0.5, v[100:101]
	v_fma_f64 v[100:101], s[16:17], v[98:99], v[86:87]
	v_fmac_f64_e32 v[86:87], s[8:9], v[98:99]
	v_fmac_f64_e32 v[100:101], s[6:7], v[84:85]
	;; [unrolled: 1-line block ×3, first 2 shown]
	v_add_f64 v[84:85], v[88:89], v[66:67]
	v_add_f64 v[84:85], v[84:85], v[70:71]
	v_add_f64 v[122:123], v[68:69], -v[64:65]
	v_add_f64 v[134:135], v[72:73], -v[76:77]
	v_add_f64 v[84:85], v[84:85], v[74:75]
	v_add_f64 v[122:123], v[122:123], v[134:135]
	;; [unrolled: 1-line block ×4, first 2 shown]
	v_fmac_f64_e32 v[100:101], s[14:15], v[122:123]
	v_fmac_f64_e32 v[86:87], s[14:15], v[122:123]
	v_fma_f64 v[122:123], -0.5, v[84:85], v[88:89]
	v_add_f64 v[64:65], v[64:65], -v[76:77]
	v_fma_f64 v[134:135], s[16:17], v[64:65], v[122:123]
	v_add_f64 v[68:69], v[68:69], -v[72:73]
	v_add_f64 v[72:73], v[66:67], -v[70:71]
	;; [unrolled: 1-line block ×3, first 2 shown]
	v_fmac_f64_e32 v[122:123], s[8:9], v[64:65]
	v_fmac_f64_e32 v[134:135], s[18:19], v[68:69]
	v_add_f64 v[72:73], v[72:73], v[76:77]
	v_fmac_f64_e32 v[122:123], s[6:7], v[68:69]
	v_fmac_f64_e32 v[134:135], s[14:15], v[72:73]
	;; [unrolled: 1-line block ×3, first 2 shown]
	v_add_f64 v[72:73], v[66:67], v[78:79]
	v_fmac_f64_e32 v[88:89], -0.5, v[72:73]
	v_fma_f64 v[136:137], s[8:9], v[68:69], v[88:89]
	v_add_f64 v[66:67], v[70:71], -v[66:67]
	v_add_f64 v[70:71], v[74:75], -v[78:79]
	v_fmac_f64_e32 v[136:137], s[18:19], v[64:65]
	v_add_f64 v[66:67], v[66:67], v[70:71]
	v_mul_f64 v[138:139], v[96:97], s[24:25]
	v_mul_f64 v[146:147], v[96:97], s[18:19]
	v_fmac_f64_e32 v[136:137], s[14:15], v[66:67]
	v_fmac_f64_e32 v[88:89], s[16:17], v[68:69]
	;; [unrolled: 1-line block ×3, first 2 shown]
	v_mul_f64 v[144:145], v[94:95], s[20:21]
	v_fmac_f64_e32 v[146:147], s[24:25], v[134:135]
	v_mul_f64 v[134:135], v[100:101], s[16:17]
	v_fmac_f64_e32 v[88:89], s[6:7], v[64:65]
	v_fmac_f64_e32 v[144:145], s[6:7], v[122:123]
	;; [unrolled: 1-line block ×3, first 2 shown]
	v_mul_f64 v[122:123], v[122:123], s[20:21]
	v_fmac_f64_e32 v[88:89], s[14:15], v[66:67]
	v_add_f64 v[70:71], v[90:91], v[146:147]
	v_add_f64 v[66:67], v[120:121], v[134:135]
	v_fmac_f64_e32 v[122:123], s[18:19], v[94:95]
	v_add_f64 v[94:95], v[90:91], -v[146:147]
	v_add_f64 v[90:91], v[120:121], -v[134:135]
	s_waitcnt lgkmcnt(7)
	v_add_f64 v[120:121], v[40:41], v[104:105]
	s_waitcnt lgkmcnt(5)
	v_add_f64 v[120:121], v[120:121], v[108:109]
	v_mul_f64 v[140:141], v[136:137], s[8:9]
	v_mul_f64 v[142:143], v[86:87], s[22:23]
	;; [unrolled: 1-line block ×3, first 2 shown]
	s_waitcnt lgkmcnt(3)
	v_add_f64 v[120:121], v[120:121], v[112:113]
	v_add_f64 v[72:73], v[126:127], v[92:93]
	v_fmac_f64_e32 v[142:143], s[8:9], v[88:89]
	v_fmac_f64_e32 v[136:137], s[16:17], v[86:87]
	v_add_f64 v[96:97], v[126:127], -v[92:93]
	s_waitcnt lgkmcnt(1)
	v_add_f64 v[126:127], v[120:121], v[116:117]
	v_add_f64 v[120:121], v[108:109], v[112:113]
	v_fmac_f64_e32 v[140:141], s[14:15], v[100:101]
	v_add_f64 v[84:85], v[80:81], v[142:143]
	v_add_f64 v[76:77], v[102:103], v[144:145]
	;; [unrolled: 1-line block ×4, first 2 shown]
	v_add_f64 v[100:101], v[80:81], -v[142:143]
	v_add_f64 v[80:81], v[102:103], -v[144:145]
	;; [unrolled: 1-line block ×4, first 2 shown]
	v_fma_f64 v[124:125], -0.5, v[120:121], v[40:41]
	v_add_f64 v[120:121], v[106:107], -v[118:119]
	v_add_f64 v[68:69], v[130:131], v[138:139]
	v_add_f64 v[64:65], v[132:133], v[140:141]
	;; [unrolled: 1-line block ×3, first 2 shown]
	v_add_f64 v[92:93], v[130:131], -v[138:139]
	v_add_f64 v[88:89], v[132:133], -v[140:141]
	;; [unrolled: 1-line block ×3, first 2 shown]
	v_fma_f64 v[130:131], s[8:9], v[120:121], v[124:125]
	v_add_f64 v[122:123], v[110:111], -v[114:115]
	v_add_f64 v[128:129], v[104:105], -v[108:109]
	;; [unrolled: 1-line block ×3, first 2 shown]
	v_fmac_f64_e32 v[124:125], s[16:17], v[120:121]
	v_fmac_f64_e32 v[130:131], s[6:7], v[122:123]
	v_add_f64 v[128:129], v[128:129], v[132:133]
	v_fmac_f64_e32 v[124:125], s[18:19], v[122:123]
	v_fmac_f64_e32 v[130:131], s[14:15], v[128:129]
	v_fmac_f64_e32 v[124:125], s[14:15], v[128:129]
	v_add_f64 v[128:129], v[104:105], v[116:117]
	v_fmac_f64_e32 v[40:41], -0.5, v[128:129]
	v_fma_f64 v[134:135], s[16:17], v[122:123], v[40:41]
	v_fmac_f64_e32 v[40:41], s[8:9], v[122:123]
	v_fmac_f64_e32 v[134:135], s[6:7], v[120:121]
	;; [unrolled: 1-line block ×3, first 2 shown]
	v_add_f64 v[120:121], v[42:43], v[106:107]
	v_add_f64 v[128:129], v[108:109], -v[104:105]
	v_add_f64 v[132:133], v[112:113], -v[116:117]
	v_add_f64 v[120:121], v[120:121], v[110:111]
	v_add_f64 v[128:129], v[128:129], v[132:133]
	;; [unrolled: 1-line block ×3, first 2 shown]
	v_fmac_f64_e32 v[134:135], s[14:15], v[128:129]
	v_fmac_f64_e32 v[40:41], s[14:15], v[128:129]
	v_add_f64 v[128:129], v[120:121], v[118:119]
	v_add_f64 v[120:121], v[110:111], v[114:115]
	v_fma_f64 v[120:121], -0.5, v[120:121], v[42:43]
	v_add_f64 v[104:105], v[104:105], -v[116:117]
	v_fma_f64 v[132:133], s[16:17], v[104:105], v[120:121]
	v_add_f64 v[108:109], v[108:109], -v[112:113]
	v_add_f64 v[112:113], v[106:107], -v[110:111]
	;; [unrolled: 1-line block ×3, first 2 shown]
	v_fmac_f64_e32 v[120:121], s[8:9], v[104:105]
	v_fmac_f64_e32 v[132:133], s[18:19], v[108:109]
	v_add_f64 v[112:113], v[112:113], v[116:117]
	v_fmac_f64_e32 v[120:121], s[6:7], v[108:109]
	v_fmac_f64_e32 v[132:133], s[14:15], v[112:113]
	;; [unrolled: 1-line block ×3, first 2 shown]
	v_add_f64 v[112:113], v[106:107], v[118:119]
	v_fmac_f64_e32 v[42:43], -0.5, v[112:113]
	v_fma_f64 v[136:137], s[8:9], v[108:109], v[42:43]
	v_fmac_f64_e32 v[42:43], s[16:17], v[108:109]
	v_fmac_f64_e32 v[136:137], s[18:19], v[104:105]
	;; [unrolled: 1-line block ×3, first 2 shown]
	v_add_f64 v[104:105], v[44:45], v[48:49]
	v_add_f64 v[104:105], v[104:105], v[52:53]
	;; [unrolled: 1-line block ×3, first 2 shown]
	v_add_f64 v[106:107], v[110:111], -v[106:107]
	v_add_f64 v[110:111], v[114:115], -v[118:119]
	s_waitcnt lgkmcnt(0)
	v_add_f64 v[108:109], v[104:105], v[60:61]
	v_add_f64 v[104:105], v[52:53], v[56:57]
	;; [unrolled: 1-line block ×3, first 2 shown]
	v_fma_f64 v[110:111], -0.5, v[104:105], v[44:45]
	v_add_f64 v[104:105], v[50:51], -v[62:63]
	v_fmac_f64_e32 v[136:137], s[14:15], v[106:107]
	v_fmac_f64_e32 v[42:43], s[14:15], v[106:107]
	v_fma_f64 v[106:107], s[8:9], v[104:105], v[110:111]
	v_add_f64 v[112:113], v[54:55], -v[58:59]
	v_add_f64 v[114:115], v[48:49], -v[52:53]
	;; [unrolled: 1-line block ×3, first 2 shown]
	v_fmac_f64_e32 v[110:111], s[16:17], v[104:105]
	v_fmac_f64_e32 v[106:107], s[6:7], v[112:113]
	v_add_f64 v[114:115], v[114:115], v[116:117]
	v_fmac_f64_e32 v[110:111], s[18:19], v[112:113]
	v_fmac_f64_e32 v[106:107], s[14:15], v[114:115]
	;; [unrolled: 1-line block ×3, first 2 shown]
	v_add_f64 v[114:115], v[48:49], v[60:61]
	v_fmac_f64_e32 v[44:45], -0.5, v[114:115]
	v_fma_f64 v[116:117], s[16:17], v[112:113], v[44:45]
	v_fmac_f64_e32 v[44:45], s[8:9], v[112:113]
	v_fmac_f64_e32 v[116:117], s[6:7], v[104:105]
	;; [unrolled: 1-line block ×3, first 2 shown]
	v_add_f64 v[104:105], v[46:47], v[50:51]
	v_add_f64 v[114:115], v[52:53], -v[48:49]
	v_add_f64 v[118:119], v[56:57], -v[60:61]
	v_add_f64 v[104:105], v[104:105], v[54:55]
	v_add_f64 v[114:115], v[114:115], v[118:119]
	;; [unrolled: 1-line block ×3, first 2 shown]
	v_fmac_f64_e32 v[116:117], s[14:15], v[114:115]
	v_fmac_f64_e32 v[44:45], s[14:15], v[114:115]
	v_add_f64 v[114:115], v[104:105], v[62:63]
	v_add_f64 v[104:105], v[54:55], v[58:59]
	v_fma_f64 v[112:113], -0.5, v[104:105], v[46:47]
	v_add_f64 v[48:49], v[48:49], -v[60:61]
	v_fma_f64 v[118:119], s[16:17], v[48:49], v[112:113]
	v_add_f64 v[52:53], v[52:53], -v[56:57]
	v_add_f64 v[56:57], v[50:51], -v[54:55]
	;; [unrolled: 1-line block ×3, first 2 shown]
	v_fmac_f64_e32 v[112:113], s[8:9], v[48:49]
	v_fmac_f64_e32 v[118:119], s[18:19], v[52:53]
	v_add_f64 v[56:57], v[56:57], v[60:61]
	v_fmac_f64_e32 v[112:113], s[6:7], v[52:53]
	v_fmac_f64_e32 v[118:119], s[14:15], v[56:57]
	;; [unrolled: 1-line block ×3, first 2 shown]
	v_add_f64 v[56:57], v[50:51], v[62:63]
	v_fmac_f64_e32 v[46:47], -0.5, v[56:57]
	v_fma_f64 v[122:123], s[8:9], v[52:53], v[46:47]
	v_add_f64 v[50:51], v[54:55], -v[50:51]
	v_add_f64 v[54:55], v[58:59], -v[62:63]
	v_fmac_f64_e32 v[46:47], s[16:17], v[52:53]
	v_fmac_f64_e32 v[122:123], s[18:19], v[48:49]
	v_add_f64 v[50:51], v[50:51], v[54:55]
	v_fmac_f64_e32 v[46:47], s[6:7], v[48:49]
	v_mul_f64 v[138:139], v[106:107], s[24:25]
	v_mul_f64 v[146:147], v[106:107], s[18:19]
	v_fmac_f64_e32 v[122:123], s[14:15], v[50:51]
	v_fmac_f64_e32 v[46:47], s[14:15], v[50:51]
	;; [unrolled: 1-line block ×4, first 2 shown]
	v_mul_f64 v[118:119], v[116:117], s[16:17]
	v_mul_f64 v[140:141], v[122:123], s[8:9]
	v_fmac_f64_e32 v[118:119], s[14:15], v[122:123]
	v_mul_f64 v[148:149], v[46:47], s[22:23]
	v_mul_f64 v[122:123], v[112:113], s[20:21]
	;; [unrolled: 1-line block ×3, first 2 shown]
	v_fmac_f64_e32 v[148:149], s[16:17], v[44:45]
	v_fmac_f64_e32 v[122:123], s[18:19], v[110:111]
	;; [unrolled: 1-line block ×3, first 2 shown]
	v_add_f64 v[50:51], v[136:137], v[118:119]
	v_add_f64 v[106:107], v[42:43], v[148:149]
	;; [unrolled: 1-line block ×3, first 2 shown]
	v_add_f64 v[46:47], v[136:137], -v[118:119]
	v_add_f64 v[118:119], v[42:43], -v[148:149]
	;; [unrolled: 1-line block ×3, first 2 shown]
	v_mul_lo_u16_e32 v120, 10, v211
	v_lshlrev_b32_e32 v246, 4, v120
	v_mul_lo_u16_sdwa v120, v211, s2 dst_sel:DWORD dst_unused:UNUSED_PAD src0_sel:BYTE_0 src1_sel:DWORD
	v_lshrrev_b16_e32 v199, 11, v120
	v_mul_lo_u16_e32 v120, 10, v199
	v_mul_f64 v[144:145], v[110:111], s[20:21]
	s_barrier
	ds_write_b128 v246, v[8:11]
	ds_write_b128 v246, v[4:7] offset:16
	ds_write_b128 v246, v[0:3] offset:32
	ds_write_b128 v246, v[16:19] offset:48
	ds_write_b128 v246, v[12:15] offset:64
	ds_write_b128 v246, v[28:31] offset:80
	ds_write_b128 v246, v[24:27] offset:96
	ds_write_b128 v246, v[20:23] offset:112
	ds_write_b128 v246, v[36:39] offset:128
	ds_write_b128 v246, v[32:35] offset:144
	v_mul_u32_u24_e32 v0, 10, v175
	v_sub_u16_e32 v120, v211, v120
	v_fmac_f64_e32 v[140:141], s[14:15], v[116:117]
	v_fmac_f64_e32 v[144:145], s[6:7], v[112:113]
	v_lshlrev_b32_e32 v182, 4, v0
	v_mul_u32_u24_e32 v0, 10, v189
	v_and_b32_e32 v200, 0xff, v120
	v_add_f64 v[56:57], v[126:127], v[108:109]
	v_add_f64 v[52:53], v[130:131], v[138:139]
	;; [unrolled: 1-line block ×7, first 2 shown]
	v_add_f64 v[112:113], v[126:127], -v[108:109]
	v_add_f64 v[108:109], v[130:131], -v[138:139]
	;; [unrolled: 1-line block ×7, first 2 shown]
	v_lshlrev_b32_e32 v184, 4, v0
	v_lshlrev_b32_e32 v120, 5, v200
	ds_write_b128 v182, v[72:75]
	ds_write_b128 v182, v[68:71] offset:16
	ds_write_b128 v182, v[64:67] offset:32
	;; [unrolled: 1-line block ×9, first 2 shown]
	ds_write_b128 v184, v[56:59]
	ds_write_b128 v184, v[52:55] offset:16
	ds_write_b128 v184, v[48:51] offset:32
	;; [unrolled: 1-line block ×9, first 2 shown]
	s_waitcnt lgkmcnt(0)
	s_barrier
	ds_read_b128 v[36:39], v177
	ds_read_b128 v[116:119], v177 offset:12960
	ds_read_b128 v[112:115], v177 offset:25920
	;; [unrolled: 1-line block ×29, first 2 shown]
	global_load_dwordx4 v[124:127], v120, s[10:11] offset:16
	global_load_dwordx4 v[128:131], v120, s[10:11]
	s_waitcnt vmcnt(0)
	buffer_store_dword v128, off, s[36:39], 0 offset:608 ; 4-byte Folded Spill
	s_nop 0
	buffer_store_dword v129, off, s[36:39], 0 offset:612 ; 4-byte Folded Spill
	buffer_store_dword v130, off, s[36:39], 0 offset:616 ; 4-byte Folded Spill
	;; [unrolled: 1-line block ×3, first 2 shown]
	s_waitcnt lgkmcnt(14)
	v_mul_f64 v[120:121], v[118:119], v[130:131]
	v_mul_f64 v[122:123], v[116:117], v[130:131]
	v_fma_f64 v[120:121], v[116:117], v[128:129], -v[120:121]
	v_fmac_f64_e32 v[122:123], v[118:119], v[128:129]
	v_pk_mov_b32 v[128:129], v[126:127], v[126:127] op_sel:[0,1]
	v_pk_mov_b32 v[126:127], v[124:125], v[124:125] op_sel:[0,1]
	buffer_store_dword v126, off, s[36:39], 0 offset:592 ; 4-byte Folded Spill
	s_nop 0
	buffer_store_dword v127, off, s[36:39], 0 offset:596 ; 4-byte Folded Spill
	buffer_store_dword v128, off, s[36:39], 0 offset:600 ; 4-byte Folded Spill
	;; [unrolled: 1-line block ×3, first 2 shown]
	v_mul_f64 v[116:117], v[114:115], v[128:129]
	v_fma_f64 v[124:125], v[112:113], v[126:127], -v[116:117]
	v_mul_f64 v[112:113], v[112:113], v[128:129]
	v_fmac_f64_e32 v[112:113], v[114:115], v[126:127]
	v_mul_lo_u16_sdwa v114, v175, s2 dst_sel:DWORD dst_unused:UNUSED_PAD src0_sel:BYTE_0 src1_sel:DWORD
	v_lshrrev_b16_e32 v191, 11, v114
	v_mul_lo_u16_e32 v114, 10, v191
	v_sub_u16_e32 v114, v175, v114
	v_and_b32_e32 v192, 0xff, v114
	v_lshlrev_b32_e32 v114, 5, v192
	global_load_dwordx4 v[116:119], v114, s[10:11] offset:16
	global_load_dwordx4 v[130:133], v114, s[10:11]
	s_waitcnt vmcnt(0)
	buffer_store_dword v130, off, s[36:39], 0 offset:640 ; 4-byte Folded Spill
	s_nop 0
	buffer_store_dword v131, off, s[36:39], 0 offset:644 ; 4-byte Folded Spill
	buffer_store_dword v132, off, s[36:39], 0 offset:648 ; 4-byte Folded Spill
	;; [unrolled: 1-line block ×4, first 2 shown]
	s_nop 0
	buffer_store_dword v117, off, s[36:39], 0 offset:628 ; 4-byte Folded Spill
	buffer_store_dword v118, off, s[36:39], 0 offset:632 ; 4-byte Folded Spill
	;; [unrolled: 1-line block ×3, first 2 shown]
	v_mul_f64 v[114:115], v[110:111], v[132:133]
	v_fma_f64 v[126:127], v[108:109], v[130:131], -v[114:115]
	v_mul_f64 v[128:129], v[108:109], v[132:133]
	v_mul_f64 v[108:109], v[106:107], v[118:119]
	v_fmac_f64_e32 v[128:129], v[110:111], v[130:131]
	v_fma_f64 v[130:131], v[104:105], v[116:117], -v[108:109]
	v_mul_f64 v[132:133], v[104:105], v[118:119]
	v_mul_lo_u16_sdwa v104, v189, s2 dst_sel:DWORD dst_unused:UNUSED_PAD src0_sel:BYTE_0 src1_sel:DWORD
	v_lshrrev_b16_e32 v193, 11, v104
	v_mul_lo_u16_e32 v104, 10, v193
	v_sub_u16_e32 v104, v189, v104
	v_and_b32_e32 v194, 0xff, v104
	v_lshlrev_b32_e32 v104, 5, v194
	v_fmac_f64_e32 v[132:133], v[106:107], v[116:117]
	global_load_dwordx4 v[106:109], v104, s[10:11] offset:16
	global_load_dwordx4 v[114:117], v104, s[10:11]
	s_waitcnt vmcnt(0)
	buffer_store_dword v114, off, s[36:39], 0 offset:672 ; 4-byte Folded Spill
	s_nop 0
	buffer_store_dword v115, off, s[36:39], 0 offset:676 ; 4-byte Folded Spill
	buffer_store_dword v116, off, s[36:39], 0 offset:680 ; 4-byte Folded Spill
	;; [unrolled: 1-line block ×4, first 2 shown]
	s_nop 0
	buffer_store_dword v107, off, s[36:39], 0 offset:660 ; 4-byte Folded Spill
	buffer_store_dword v108, off, s[36:39], 0 offset:664 ; 4-byte Folded Spill
	;; [unrolled: 1-line block ×3, first 2 shown]
	s_mov_b32 s2, 0xcccd
	v_mul_f64 v[104:105], v[102:103], v[116:117]
	v_fma_f64 v[134:135], v[100:101], v[114:115], -v[104:105]
	v_mul_f64 v[136:137], v[100:101], v[116:117]
	v_mul_f64 v[100:101], v[98:99], v[108:109]
	v_fma_f64 v[138:139], v[96:97], v[106:107], -v[100:101]
	v_mul_f64 v[140:141], v[96:97], v[108:109]
	v_mul_u32_u24_sdwa v96, v187, s2 dst_sel:DWORD dst_unused:UNUSED_PAD src0_sel:WORD_0 src1_sel:DWORD
	v_lshrrev_b32_e32 v195, 19, v96
	v_mul_lo_u16_e32 v96, 10, v195
	v_sub_u16_e32 v196, v187, v96
	v_lshlrev_b16_e32 v96, 1, v196
	v_lshlrev_b32_e32 v96, 4, v96
	v_fmac_f64_e32 v[136:137], v[102:103], v[114:115]
	v_fmac_f64_e32 v[140:141], v[98:99], v[106:107]
	global_load_dwordx4 v[98:101], v96, s[10:11] offset:16
	global_load_dwordx4 v[102:105], v96, s[10:11]
	s_waitcnt vmcnt(0)
	buffer_store_dword v102, off, s[36:39], 0 offset:704 ; 4-byte Folded Spill
	s_nop 0
	buffer_store_dword v103, off, s[36:39], 0 offset:708 ; 4-byte Folded Spill
	buffer_store_dword v104, off, s[36:39], 0 offset:712 ; 4-byte Folded Spill
	buffer_store_dword v105, off, s[36:39], 0 offset:716 ; 4-byte Folded Spill
	buffer_store_dword v98, off, s[36:39], 0 offset:688 ; 4-byte Folded Spill
	s_nop 0
	buffer_store_dword v99, off, s[36:39], 0 offset:692 ; 4-byte Folded Spill
	buffer_store_dword v100, off, s[36:39], 0 offset:696 ; 4-byte Folded Spill
	;; [unrolled: 1-line block ×3, first 2 shown]
	v_mul_f64 v[96:97], v[94:95], v[104:105]
	v_fma_f64 v[142:143], v[92:93], v[102:103], -v[96:97]
	v_mul_f64 v[144:145], v[92:93], v[104:105]
	v_mul_f64 v[92:93], v[90:91], v[100:101]
	v_fma_f64 v[146:147], v[88:89], v[98:99], -v[92:93]
	v_mul_f64 v[148:149], v[88:89], v[100:101]
	v_mul_u32_u24_sdwa v88, v186, s2 dst_sel:DWORD dst_unused:UNUSED_PAD src0_sel:WORD_0 src1_sel:DWORD
	v_lshrrev_b32_e32 v197, 19, v88
	v_mul_lo_u16_e32 v88, 10, v197
	v_sub_u16_e32 v198, v186, v88
	v_lshlrev_b16_e32 v88, 1, v198
	v_lshlrev_b32_e32 v88, 4, v88
	v_fmac_f64_e32 v[144:145], v[94:95], v[102:103]
	v_fmac_f64_e32 v[148:149], v[90:91], v[98:99]
	global_load_dwordx4 v[90:93], v88, s[10:11] offset:16
	global_load_dwordx4 v[94:97], v88, s[10:11]
	s_waitcnt vmcnt(0)
	buffer_store_dword v94, off, s[36:39], 0 offset:736 ; 4-byte Folded Spill
	s_nop 0
	buffer_store_dword v95, off, s[36:39], 0 offset:740 ; 4-byte Folded Spill
	buffer_store_dword v96, off, s[36:39], 0 offset:744 ; 4-byte Folded Spill
	;; [unrolled: 1-line block ×4, first 2 shown]
	s_nop 0
	buffer_store_dword v91, off, s[36:39], 0 offset:724 ; 4-byte Folded Spill
	buffer_store_dword v92, off, s[36:39], 0 offset:728 ; 4-byte Folded Spill
	;; [unrolled: 1-line block ×3, first 2 shown]
	v_mul_f64 v[88:89], v[86:87], v[96:97]
	v_fma_f64 v[150:151], v[84:85], v[94:95], -v[88:89]
	v_mul_f64 v[152:153], v[84:85], v[96:97]
	v_mul_f64 v[84:85], v[82:83], v[92:93]
	v_fma_f64 v[154:155], v[80:81], v[90:91], -v[84:85]
	v_mul_f64 v[156:157], v[80:81], v[92:93]
	v_mul_u32_u24_sdwa v80, v188, s2 dst_sel:DWORD dst_unused:UNUSED_PAD src0_sel:WORD_0 src1_sel:DWORD
	v_lshrrev_b32_e32 v201, 19, v80
	v_mul_lo_u16_e32 v80, 10, v201
	v_sub_u16_e32 v202, v188, v80
	v_lshlrev_b16_e32 v80, 1, v202
	v_lshlrev_b32_e32 v80, 4, v80
	v_fmac_f64_e32 v[152:153], v[86:87], v[94:95]
	v_fmac_f64_e32 v[156:157], v[82:83], v[90:91]
	global_load_dwordx4 v[82:85], v80, s[10:11] offset:16
	global_load_dwordx4 v[86:89], v80, s[10:11]
	s_waitcnt vmcnt(0) lgkmcnt(13)
	v_mul_f64 v[80:81], v[78:79], v[88:89]
	v_fma_f64 v[158:159], v[76:77], v[86:87], -v[80:81]
	buffer_store_dword v86, off, s[36:39], 0 offset:752 ; 4-byte Folded Spill
	s_nop 0
	buffer_store_dword v87, off, s[36:39], 0 offset:756 ; 4-byte Folded Spill
	buffer_store_dword v88, off, s[36:39], 0 offset:760 ; 4-byte Folded Spill
	buffer_store_dword v89, off, s[36:39], 0 offset:764 ; 4-byte Folded Spill
	buffer_store_dword v82, off, s[36:39], 0 offset:768 ; 4-byte Folded Spill
	s_nop 0
	buffer_store_dword v83, off, s[36:39], 0 offset:772 ; 4-byte Folded Spill
	buffer_store_dword v84, off, s[36:39], 0 offset:776 ; 4-byte Folded Spill
	;; [unrolled: 1-line block ×3, first 2 shown]
	v_mul_f64 v[160:161], v[76:77], v[88:89]
	s_waitcnt lgkmcnt(12)
	v_mul_f64 v[76:77], v[74:75], v[84:85]
	v_fma_f64 v[162:163], v[72:73], v[82:83], -v[76:77]
	v_mul_f64 v[164:165], v[72:73], v[84:85]
	v_mul_u32_u24_sdwa v72, v183, s2 dst_sel:DWORD dst_unused:UNUSED_PAD src0_sel:WORD_0 src1_sel:DWORD
	v_lshrrev_b32_e32 v205, 19, v72
	v_mul_lo_u16_e32 v72, 10, v205
	v_sub_u16_e32 v206, v183, v72
	v_lshlrev_b16_e32 v72, 1, v206
	v_lshlrev_b32_e32 v72, 4, v72
	v_fmac_f64_e32 v[160:161], v[78:79], v[86:87]
	v_fmac_f64_e32 v[164:165], v[74:75], v[82:83]
	global_load_dwordx4 v[74:77], v72, s[10:11] offset:16
	global_load_dwordx4 v[78:81], v72, s[10:11]
	s_waitcnt vmcnt(0)
	buffer_store_dword v78, off, s[36:39], 0 offset:784 ; 4-byte Folded Spill
	s_nop 0
	buffer_store_dword v79, off, s[36:39], 0 offset:788 ; 4-byte Folded Spill
	buffer_store_dword v80, off, s[36:39], 0 offset:792 ; 4-byte Folded Spill
	buffer_store_dword v81, off, s[36:39], 0 offset:796 ; 4-byte Folded Spill
	buffer_store_dword v74, off, s[36:39], 0 offset:800 ; 4-byte Folded Spill
	s_nop 0
	buffer_store_dword v75, off, s[36:39], 0 offset:804 ; 4-byte Folded Spill
	buffer_store_dword v76, off, s[36:39], 0 offset:808 ; 4-byte Folded Spill
	;; [unrolled: 1-line block ×3, first 2 shown]
	s_waitcnt lgkmcnt(10)
	v_mul_f64 v[72:73], v[70:71], v[80:81]
	v_fma_f64 v[166:167], v[68:69], v[78:79], -v[72:73]
	v_mul_f64 v[168:169], v[68:69], v[80:81]
	s_waitcnt lgkmcnt(9)
	v_mul_f64 v[68:69], v[66:67], v[76:77]
	v_fma_f64 v[170:171], v[64:65], v[74:75], -v[68:69]
	v_mul_f64 v[172:173], v[64:65], v[76:77]
	v_mul_u32_u24_sdwa v64, v180, s2 dst_sel:DWORD dst_unused:UNUSED_PAD src0_sel:WORD_0 src1_sel:DWORD
	v_lshrrev_b32_e32 v208, 19, v64
	v_mul_lo_u16_e32 v64, 10, v208
	v_sub_u16_e32 v210, v180, v64
	v_lshlrev_b16_e32 v64, 1, v210
	v_lshlrev_b32_e32 v64, 4, v64
	v_fmac_f64_e32 v[168:169], v[70:71], v[78:79]
	v_fmac_f64_e32 v[172:173], v[66:67], v[74:75]
	global_load_dwordx4 v[66:69], v64, s[10:11] offset:16
	global_load_dwordx4 v[70:73], v64, s[10:11]
	s_waitcnt vmcnt(1) lgkmcnt(6)
	v_mul_f64 v[218:219], v[56:57], v[68:69]
	s_waitcnt vmcnt(0)
	v_mul_f64 v[64:65], v[62:63], v[72:73]
	v_fma_f64 v[212:213], v[60:61], v[70:71], -v[64:65]
	v_mul_f64 v[214:215], v[60:61], v[72:73]
	v_mul_f64 v[60:61], v[58:59], v[68:69]
	v_fma_f64 v[216:217], v[56:57], v[66:67], -v[60:61]
	v_mul_u32_u24_sdwa v56, v185, s2 dst_sel:DWORD dst_unused:UNUSED_PAD src0_sel:WORD_0 src1_sel:DWORD
	v_lshrrev_b32_e32 v207, 19, v56
	v_mul_lo_u16_e32 v56, 10, v207
	v_sub_u16_e32 v209, v185, v56
	v_lshlrev_b16_e32 v56, 1, v209
	v_lshlrev_b32_e32 v56, 4, v56
	v_fmac_f64_e32 v[214:215], v[62:63], v[70:71]
	v_fmac_f64_e32 v[218:219], v[58:59], v[66:67]
	global_load_dwordx4 v[58:61], v56, s[10:11] offset:16
	global_load_dwordx4 v[62:65], v56, s[10:11]
	v_accvgpr_write_b32 a211, v73
	v_accvgpr_write_b32 a210, v72
	;; [unrolled: 1-line block ×8, first 2 shown]
	s_waitcnt vmcnt(1) lgkmcnt(3)
	v_mul_f64 v[226:227], v[48:49], v[60:61]
	s_waitcnt vmcnt(0)
	v_mul_f64 v[56:57], v[54:55], v[64:65]
	v_fma_f64 v[220:221], v[52:53], v[62:63], -v[56:57]
	v_mul_f64 v[222:223], v[52:53], v[64:65]
	v_mul_f64 v[52:53], v[50:51], v[60:61]
	v_fma_f64 v[224:225], v[48:49], v[58:59], -v[52:53]
	v_mul_u32_u24_sdwa v48, v181, s2 dst_sel:DWORD dst_unused:UNUSED_PAD src0_sel:WORD_0 src1_sel:DWORD
	v_lshrrev_b32_e32 v203, 19, v48
	v_mul_lo_u16_e32 v48, 10, v203
	v_sub_u16_e32 v204, v181, v48
	v_lshlrev_b16_e32 v48, 1, v204
	v_lshlrev_b32_e32 v48, 4, v48
	v_fmac_f64_e32 v[222:223], v[54:55], v[62:63]
	v_fmac_f64_e32 v[226:227], v[50:51], v[58:59]
	global_load_dwordx4 v[50:53], v48, s[10:11] offset:16
	global_load_dwordx4 v[54:57], v48, s[10:11]
	s_mov_b32 s2, 0xe8584caa
	s_mov_b32 s3, 0x3febb67a
	;; [unrolled: 1-line block ×3, first 2 shown]
	v_accvgpr_write_b32 a191, v65
	v_accvgpr_write_b32 a190, v64
	;; [unrolled: 1-line block ×8, first 2 shown]
	s_waitcnt lgkmcnt(0)
	s_barrier
	s_waitcnt vmcnt(1)
	v_mul_f64 v[234:235], v[40:41], v[52:53]
	s_waitcnt vmcnt(0)
	v_mul_f64 v[48:49], v[46:47], v[56:57]
	v_fma_f64 v[228:229], v[44:45], v[54:55], -v[48:49]
	v_mul_f64 v[230:231], v[44:45], v[56:57]
	v_mul_f64 v[44:45], v[42:43], v[52:53]
	v_fma_f64 v[232:233], v[40:41], v[50:51], -v[44:45]
	v_add_f64 v[40:41], v[36:37], v[120:121]
	v_add_f64 v[116:117], v[40:41], v[124:125]
	v_add_f64 v[40:41], v[120:121], v[124:125]
	v_fmac_f64_e32 v[36:37], -0.5, v[40:41]
	v_add_f64 v[40:41], v[122:123], -v[112:113]
	v_fma_f64 v[108:109], s[2:3], v[40:41], v[36:37]
	v_fmac_f64_e32 v[36:37], s[4:5], v[40:41]
	v_add_f64 v[40:41], v[38:39], v[122:123]
	v_add_f64 v[118:119], v[40:41], v[112:113]
	v_add_f64 v[40:41], v[122:123], v[112:113]
	v_fmac_f64_e32 v[38:39], -0.5, v[40:41]
	v_add_f64 v[40:41], v[120:121], -v[124:125]
	v_fma_f64 v[110:111], s[4:5], v[40:41], v[38:39]
	v_fmac_f64_e32 v[38:39], s[2:3], v[40:41]
	;; [unrolled: 7-line block ×14, first 2 shown]
	v_add_f64 v[40:41], v[8:9], v[212:213]
	v_add_f64 v[60:61], v[40:41], v[216:217]
	;; [unrolled: 1-line block ×3, first 2 shown]
	v_accvgpr_write_b32 a199, v57
	v_fmac_f64_e32 v[8:9], -0.5, v[40:41]
	v_add_f64 v[40:41], v[214:215], -v[218:219]
	v_accvgpr_write_b32 a198, v56
	v_accvgpr_write_b32 a197, v55
	;; [unrolled: 1-line block ×3, first 2 shown]
	v_fma_f64 v[56:57], s[2:3], v[40:41], v[8:9]
	v_fmac_f64_e32 v[8:9], s[4:5], v[40:41]
	v_add_f64 v[40:41], v[10:11], v[214:215]
	v_add_f64 v[62:63], v[40:41], v[218:219]
	v_add_f64 v[40:41], v[214:215], v[218:219]
	v_fmac_f64_e32 v[10:11], -0.5, v[40:41]
	v_add_f64 v[40:41], v[212:213], -v[216:217]
	v_accvgpr_write_b32 a203, v53
	v_fma_f64 v[58:59], s[4:5], v[40:41], v[10:11]
	v_fmac_f64_e32 v[10:11], s[2:3], v[40:41]
	v_add_f64 v[40:41], v[4:5], v[220:221]
	v_accvgpr_write_b32 a202, v52
	v_accvgpr_write_b32 a201, v51
	;; [unrolled: 1-line block ×3, first 2 shown]
	v_add_f64 v[52:53], v[40:41], v[224:225]
	v_add_f64 v[40:41], v[220:221], v[224:225]
	v_fmac_f64_e32 v[4:5], -0.5, v[40:41]
	v_add_f64 v[40:41], v[222:223], -v[226:227]
	v_fma_f64 v[48:49], s[2:3], v[40:41], v[4:5]
	v_fmac_f64_e32 v[4:5], s[4:5], v[40:41]
	v_add_f64 v[40:41], v[6:7], v[222:223]
	v_fmac_f64_e32 v[230:231], v[46:47], v[54:55]
	v_add_f64 v[54:55], v[40:41], v[226:227]
	v_add_f64 v[40:41], v[222:223], v[226:227]
	v_fmac_f64_e32 v[6:7], -0.5, v[40:41]
	v_add_f64 v[40:41], v[220:221], -v[224:225]
	v_fmac_f64_e32 v[234:235], v[42:43], v[50:51]
	v_fma_f64 v[50:51], s[4:5], v[40:41], v[6:7]
	v_fmac_f64_e32 v[6:7], s[2:3], v[40:41]
	v_add_f64 v[40:41], v[0:1], v[228:229]
	v_add_f64 v[44:45], v[40:41], v[232:233]
	;; [unrolled: 1-line block ×3, first 2 shown]
	v_fmac_f64_e32 v[0:1], -0.5, v[40:41]
	v_add_f64 v[42:43], v[230:231], -v[234:235]
	v_fma_f64 v[40:41], s[2:3], v[42:43], v[0:1]
	v_fmac_f64_e32 v[0:1], s[4:5], v[42:43]
	v_add_f64 v[42:43], v[2:3], v[230:231]
	v_add_f64 v[46:47], v[42:43], v[234:235]
	;; [unrolled: 1-line block ×3, first 2 shown]
	v_fmac_f64_e32 v[2:3], -0.5, v[42:43]
	v_add_f64 v[120:121], v[228:229], -v[232:233]
	v_fma_f64 v[42:43], s[4:5], v[120:121], v[2:3]
	v_fmac_f64_e32 v[2:3], s[2:3], v[120:121]
	v_mul_u32_u24_e32 v120, 30, v199
	v_add_lshl_u32 v120, v120, v200, 4
	buffer_store_dword v120, off, s[36:39], 0 offset:4 ; 4-byte Folded Spill
	ds_write_b128 v120, v[116:119]
	ds_write_b128 v120, v[108:111] offset:160
	ds_write_b128 v120, v[36:39] offset:320
	v_mul_u32_u24_e32 v36, 30, v191
	v_add_lshl_u32 v36, v36, v192, 4
	ds_write_b128 v36, v[112:115]
	buffer_store_dword v36, off, s[36:39], 0 offset:8 ; 4-byte Folded Spill
	ds_write_b128 v36, v[104:107] offset:160
	ds_write_b128 v36, v[32:35] offset:320
	v_mul_u32_u24_e32 v32, 30, v193
	v_add_lshl_u32 v32, v32, v194, 4
	ds_write_b128 v32, v[100:103]
	buffer_store_dword v32, off, s[36:39], 0 offset:12 ; 4-byte Folded Spill
	ds_write_b128 v32, v[96:99] offset:160
	ds_write_b128 v32, v[28:31] offset:320
	v_mad_legacy_u16 v28, v195, 30, v196
	v_lshlrev_b32_e32 v28, 4, v28
	ds_write_b128 v28, v[92:95]
	buffer_store_dword v28, off, s[36:39], 0 offset:16 ; 4-byte Folded Spill
	ds_write_b128 v28, v[88:91] offset:160
	ds_write_b128 v28, v[24:27] offset:320
	v_mad_legacy_u16 v24, v197, 30, v198
	v_lshlrev_b32_e32 v24, 4, v24
	;; [unrolled: 6-line block ×4, first 2 shown]
	ds_write_b128 v16, v[68:71]
	buffer_store_dword v16, off, s[36:39], 0 offset:156 ; 4-byte Folded Spill
	ds_write_b128 v16, v[64:67] offset:160
	ds_write_b128 v16, v[12:15] offset:320
	v_mad_legacy_u16 v12, v208, 30, v210
	v_mul_lo_u16_sdwa v120, v211, s30 dst_sel:DWORD dst_unused:UNUSED_PAD src0_sel:BYTE_0 src1_sel:DWORD
	v_lshlrev_b32_e32 v12, 4, v12
	v_lshrrev_b16_e32 v206, 12, v120
	ds_write_b128 v12, v[60:63]
	buffer_store_dword v12, off, s[36:39], 0 offset:160 ; 4-byte Folded Spill
	ds_write_b128 v12, v[56:59] offset:160
	ds_write_b128 v12, v[8:11] offset:320
	v_mad_legacy_u16 v8, v207, 30, v209
	v_mul_lo_u16_e32 v120, 30, v206
	v_lshlrev_b32_e32 v8, 4, v8
	v_sub_u16_e32 v120, v211, v120
	ds_write_b128 v8, v[52:55]
	ds_write_b128 v8, v[48:51] offset:160
	ds_write_b128 v8, v[4:7] offset:320
	v_mad_legacy_u16 v4, v203, 30, v204
	v_and_b32_e32 v207, 0xff, v120
	v_lshlrev_b32_e32 v4, 4, v4
	v_lshlrev_b32_e32 v120, 5, v207
	buffer_store_dword v8, off, s[36:39], 0 offset:168 ; 4-byte Folded Spill
	buffer_store_dword v4, off, s[36:39], 0 offset:164 ; 4-byte Folded Spill
	ds_write_b128 v4, v[44:47]
	ds_write_b128 v4, v[40:43] offset:160
	ds_write_b128 v4, v[0:3] offset:320
	s_waitcnt lgkmcnt(0)
	s_barrier
	ds_read_b128 v[36:39], v177
	ds_read_b128 v[116:119], v177 offset:12960
	ds_read_b128 v[112:115], v177 offset:25920
	;; [unrolled: 1-line block ×29, first 2 shown]
	global_load_dwordx4 v[124:127], v120, s[10:11] offset:336
	global_load_dwordx4 v[128:131], v120, s[10:11] offset:320
	s_waitcnt vmcnt(0) lgkmcnt(14)
	v_mul_f64 v[120:121], v[118:119], v[130:131]
	v_mul_f64 v[122:123], v[116:117], v[130:131]
	v_accvgpr_write_b32 a215, v131
	v_fma_f64 v[120:121], v[116:117], v[128:129], -v[120:121]
	v_fmac_f64_e32 v[122:123], v[118:119], v[128:129]
	v_accvgpr_write_b32 a214, v130
	v_accvgpr_write_b32 a213, v129
	;; [unrolled: 1-line block ×3, first 2 shown]
	v_pk_mov_b32 v[128:129], v[126:127], v[126:127] op_sel:[0,1]
	v_pk_mov_b32 v[126:127], v[124:125], v[124:125] op_sel:[0,1]
	v_mul_f64 v[116:117], v[114:115], v[128:129]
	v_fma_f64 v[124:125], v[112:113], v[126:127], -v[116:117]
	v_mul_f64 v[112:113], v[112:113], v[128:129]
	v_fmac_f64_e32 v[112:113], v[114:115], v[126:127]
	v_mul_lo_u16_sdwa v114, v175, s30 dst_sel:DWORD dst_unused:UNUSED_PAD src0_sel:BYTE_0 src1_sel:DWORD
	v_lshrrev_b16_e32 v204, 12, v114
	v_mul_lo_u16_e32 v114, 30, v204
	v_sub_u16_e32 v114, v175, v114
	v_and_b32_e32 v205, 0xff, v114
	v_lshlrev_b32_e32 v114, 5, v205
	global_load_dwordx4 v[116:119], v114, s[10:11] offset:336
	global_load_dwordx4 v[130:133], v114, s[10:11] offset:320
	v_accvgpr_write_b32 a221, v129
	v_accvgpr_write_b32 a220, v128
	;; [unrolled: 1-line block ×4, first 2 shown]
	v_mov_b32_e32 v126, s11
	s_waitcnt vmcnt(1)
	v_accvgpr_write_b32 a229, v119
	s_waitcnt vmcnt(0)
	v_mul_f64 v[114:115], v[110:111], v[132:133]
	v_fma_f64 v[170:171], v[108:109], v[130:131], -v[114:115]
	v_mul_f64 v[128:129], v[108:109], v[132:133]
	v_accvgpr_write_b32 a225, v133
	v_mul_f64 v[108:109], v[106:107], v[118:119]
	v_fmac_f64_e32 v[128:129], v[110:111], v[130:131]
	v_accvgpr_write_b32 a224, v132
	v_accvgpr_write_b32 a223, v131
	;; [unrolled: 1-line block ×3, first 2 shown]
	v_fma_f64 v[130:131], v[104:105], v[116:117], -v[108:109]
	v_mul_f64 v[132:133], v[104:105], v[118:119]
	v_mul_lo_u16_sdwa v104, v189, s30 dst_sel:DWORD dst_unused:UNUSED_PAD src0_sel:BYTE_0 src1_sel:DWORD
	v_lshrrev_b16_e32 v192, 12, v104
	v_mul_lo_u16_e32 v104, 30, v192
	v_sub_u16_e32 v104, v189, v104
	v_and_b32_e32 v200, 0xff, v104
	v_lshlrev_b32_e32 v104, 5, v200
	v_fmac_f64_e32 v[132:133], v[106:107], v[116:117]
	v_accvgpr_write_b32 a228, v118
	v_accvgpr_write_b32 a227, v117
	;; [unrolled: 1-line block ×3, first 2 shown]
	global_load_dwordx4 v[106:109], v104, s[10:11] offset:336
	global_load_dwordx4 v[114:117], v104, s[10:11] offset:320
	s_mov_b32 s30, 0x8889
	s_waitcnt vmcnt(1)
	v_mul_f64 v[140:141], v[96:97], v[108:109]
	s_waitcnt vmcnt(0)
	v_mul_f64 v[104:105], v[102:103], v[116:117]
	v_fma_f64 v[134:135], v[100:101], v[114:115], -v[104:105]
	v_mul_f64 v[136:137], v[100:101], v[116:117]
	v_mul_f64 v[100:101], v[98:99], v[108:109]
	v_fma_f64 v[138:139], v[96:97], v[106:107], -v[100:101]
	v_mul_u32_u24_sdwa v96, v187, s30 dst_sel:DWORD dst_unused:UNUSED_PAD src0_sel:WORD_0 src1_sel:DWORD
	v_lshrrev_b32_e32 v127, 20, v96
	v_mul_lo_u16_e32 v96, 30, v127
	v_sub_u16_e32 v193, v187, v96
	v_lshlrev_b16_e32 v96, 5, v193
	v_add_co_u32_e32 v96, vcc, s10, v96
	v_addc_co_u32_e32 v97, vcc, 0, v126, vcc
	v_fmac_f64_e32 v[136:137], v[102:103], v[114:115]
	v_fmac_f64_e32 v[140:141], v[98:99], v[106:107]
	global_load_dwordx4 v[98:101], v[96:97], off offset:336
	global_load_dwordx4 v[102:105], v[96:97], off offset:320
	v_accvgpr_write_b32 a233, v117
	v_accvgpr_write_b32 a232, v116
	v_accvgpr_write_b32 a231, v115
	v_accvgpr_write_b32 a230, v114
	v_accvgpr_write_b32 a237, v109
	v_accvgpr_write_b32 a236, v108
	v_accvgpr_write_b32 a235, v107
	v_accvgpr_write_b32 a234, v106
	s_waitcnt vmcnt(1)
	v_mul_f64 v[148:149], v[88:89], v[100:101]
	s_waitcnt vmcnt(0)
	v_mul_f64 v[96:97], v[94:95], v[104:105]
	v_fma_f64 v[142:143], v[92:93], v[102:103], -v[96:97]
	v_mul_f64 v[144:145], v[92:93], v[104:105]
	v_mul_f64 v[92:93], v[90:91], v[100:101]
	v_fma_f64 v[146:147], v[88:89], v[98:99], -v[92:93]
	v_mul_u32_u24_sdwa v88, v186, s30 dst_sel:DWORD dst_unused:UNUSED_PAD src0_sel:WORD_0 src1_sel:DWORD
	v_lshrrev_b32_e32 v172, 20, v88
	v_mul_lo_u16_e32 v88, 30, v172
	v_sub_u16_e32 v194, v186, v88
	v_lshlrev_b16_e32 v88, 5, v194
	v_add_co_u32_e32 v88, vcc, s10, v88
	v_addc_co_u32_e32 v89, vcc, 0, v126, vcc
	v_fmac_f64_e32 v[144:145], v[94:95], v[102:103]
	v_fmac_f64_e32 v[148:149], v[90:91], v[98:99]
	global_load_dwordx4 v[90:93], v[88:89], off offset:336
	global_load_dwordx4 v[94:97], v[88:89], off offset:320
	v_accvgpr_write_b32 a241, v105
	v_accvgpr_write_b32 a240, v104
	v_accvgpr_write_b32 a239, v103
	v_accvgpr_write_b32 a238, v102
	v_accvgpr_write_b32 a245, v101
	v_accvgpr_write_b32 a244, v100
	v_accvgpr_write_b32 a243, v99
	v_accvgpr_write_b32 a242, v98
	;; [unrolled: 27-line block ×3, first 2 shown]
	s_waitcnt vmcnt(1) lgkmcnt(12)
	v_mul_f64 v[164:165], v[72:73], v[84:85]
	s_waitcnt vmcnt(0)
	v_mul_f64 v[80:81], v[78:79], v[88:89]
	v_fma_f64 v[158:159], v[76:77], v[86:87], -v[80:81]
	v_mul_f64 v[160:161], v[76:77], v[88:89]
	v_mul_f64 v[76:77], v[74:75], v[84:85]
	v_fma_f64 v[162:163], v[72:73], v[82:83], -v[76:77]
	v_mul_u32_u24_sdwa v72, v183, s30 dst_sel:DWORD dst_unused:UNUSED_PAD src0_sel:WORD_0 src1_sel:DWORD
	v_lshrrev_b32_e32 v173, 20, v72
	v_mul_lo_u16_e32 v72, 30, v173
	v_sub_u16_e32 v196, v183, v72
	v_lshlrev_b16_e32 v72, 5, v196
	v_add_co_u32_e32 v72, vcc, s10, v72
	v_addc_co_u32_e32 v73, vcc, 0, v126, vcc
	v_fmac_f64_e32 v[160:161], v[78:79], v[86:87]
	v_fmac_f64_e32 v[164:165], v[74:75], v[82:83]
	global_load_dwordx4 v[74:77], v[72:73], off offset:336
	global_load_dwordx4 v[78:81], v[72:73], off offset:320
	v_accvgpr_write_b32 a207, v89
	v_accvgpr_write_b32 a206, v88
	v_accvgpr_write_b32 a205, v87
	v_accvgpr_write_b32 a204, v86
	v_accvgpr_write_b32 a183, v85
	v_accvgpr_write_b32 a182, v84
	v_accvgpr_write_b32 a181, v83
	v_accvgpr_write_b32 a180, v82
	s_waitcnt vmcnt(1) lgkmcnt(9)
	v_mul_f64 v[210:211], v[64:65], v[76:77]
	s_waitcnt vmcnt(0)
	v_mul_f64 v[72:73], v[70:71], v[80:81]
	v_fma_f64 v[166:167], v[68:69], v[78:79], -v[72:73]
	v_mul_f64 v[168:169], v[68:69], v[80:81]
	v_mul_f64 v[68:69], v[66:67], v[76:77]
	v_fma_f64 v[208:209], v[64:65], v[74:75], -v[68:69]
	v_mul_u32_u24_sdwa v64, v180, s30 dst_sel:DWORD dst_unused:UNUSED_PAD src0_sel:WORD_0 src1_sel:DWORD
	v_lshrrev_b32_e32 v197, 20, v64
	v_mul_lo_u16_e32 v64, 30, v197
	v_sub_u16_e32 v202, v180, v64
	v_lshlrev_b16_e32 v64, 5, v202
	v_add_co_u32_e32 v64, vcc, s10, v64
	v_addc_co_u32_e32 v65, vcc, 0, v126, vcc
	v_fmac_f64_e32 v[168:169], v[70:71], v[78:79]
	v_fmac_f64_e32 v[210:211], v[66:67], v[74:75]
	global_load_dwordx4 v[66:69], v[64:65], off offset:336
	global_load_dwordx4 v[70:73], v[64:65], off offset:320
	v_accvgpr_write_b32 a179, v81
	v_accvgpr_write_b32 a178, v80
	v_accvgpr_write_b32 a177, v79
	v_accvgpr_write_b32 a176, v78
	v_accvgpr_write_b32 a175, v77
	v_accvgpr_write_b32 a174, v76
	v_accvgpr_write_b32 a173, v75
	v_accvgpr_write_b32 a172, v74
	;; [unrolled: 27-line block ×4, first 2 shown]
	s_waitcnt lgkmcnt(0)
	s_barrier
	s_movk_i32 s30, 0x5a
	s_waitcnt vmcnt(1)
	v_mul_f64 v[234:235], v[40:41], v[52:53]
	s_waitcnt vmcnt(0)
	v_mul_f64 v[48:49], v[46:47], v[56:57]
	v_fma_f64 v[228:229], v[44:45], v[54:55], -v[48:49]
	v_mul_f64 v[230:231], v[44:45], v[56:57]
	v_mul_f64 v[44:45], v[42:43], v[52:53]
	v_fma_f64 v[232:233], v[40:41], v[50:51], -v[44:45]
	v_add_f64 v[40:41], v[36:37], v[120:121]
	v_add_f64 v[116:117], v[40:41], v[124:125]
	v_add_f64 v[40:41], v[120:121], v[124:125]
	v_fmac_f64_e32 v[36:37], -0.5, v[40:41]
	v_add_f64 v[40:41], v[122:123], -v[112:113]
	v_fma_f64 v[108:109], s[2:3], v[40:41], v[36:37]
	v_fmac_f64_e32 v[36:37], s[4:5], v[40:41]
	v_add_f64 v[40:41], v[38:39], v[122:123]
	v_add_f64 v[118:119], v[40:41], v[112:113]
	v_add_f64 v[40:41], v[122:123], v[112:113]
	v_fmac_f64_e32 v[38:39], -0.5, v[40:41]
	v_add_f64 v[40:41], v[120:121], -v[124:125]
	v_fma_f64 v[110:111], s[4:5], v[40:41], v[38:39]
	v_fmac_f64_e32 v[38:39], s[2:3], v[40:41]
	;; [unrolled: 7-line block ×14, first 2 shown]
	v_add_f64 v[40:41], v[8:9], v[212:213]
	v_add_f64 v[60:61], v[40:41], v[216:217]
	;; [unrolled: 1-line block ×3, first 2 shown]
	v_accvgpr_write_b32 a155, v57
	v_fmac_f64_e32 v[8:9], -0.5, v[40:41]
	v_add_f64 v[40:41], v[214:215], -v[218:219]
	v_accvgpr_write_b32 a154, v56
	v_accvgpr_write_b32 a153, v55
	;; [unrolled: 1-line block ×3, first 2 shown]
	v_fma_f64 v[56:57], s[2:3], v[40:41], v[8:9]
	v_fmac_f64_e32 v[8:9], s[4:5], v[40:41]
	v_add_f64 v[40:41], v[10:11], v[214:215]
	v_add_f64 v[62:63], v[40:41], v[218:219]
	;; [unrolled: 1-line block ×3, first 2 shown]
	v_fmac_f64_e32 v[10:11], -0.5, v[40:41]
	v_add_f64 v[40:41], v[212:213], -v[216:217]
	v_accvgpr_write_b32 a151, v53
	v_fma_f64 v[58:59], s[4:5], v[40:41], v[10:11]
	v_fmac_f64_e32 v[10:11], s[2:3], v[40:41]
	v_add_f64 v[40:41], v[4:5], v[220:221]
	v_accvgpr_write_b32 a150, v52
	v_accvgpr_write_b32 a149, v51
	;; [unrolled: 1-line block ×3, first 2 shown]
	v_add_f64 v[52:53], v[40:41], v[224:225]
	v_add_f64 v[40:41], v[220:221], v[224:225]
	v_fmac_f64_e32 v[4:5], -0.5, v[40:41]
	v_add_f64 v[40:41], v[222:223], -v[226:227]
	v_fma_f64 v[48:49], s[2:3], v[40:41], v[4:5]
	v_fmac_f64_e32 v[4:5], s[4:5], v[40:41]
	v_add_f64 v[40:41], v[6:7], v[222:223]
	v_fmac_f64_e32 v[230:231], v[46:47], v[54:55]
	v_add_f64 v[54:55], v[40:41], v[226:227]
	v_add_f64 v[40:41], v[222:223], v[226:227]
	v_fmac_f64_e32 v[6:7], -0.5, v[40:41]
	v_add_f64 v[40:41], v[220:221], -v[224:225]
	v_fmac_f64_e32 v[234:235], v[42:43], v[50:51]
	v_fma_f64 v[50:51], s[4:5], v[40:41], v[6:7]
	v_fmac_f64_e32 v[6:7], s[2:3], v[40:41]
	v_add_f64 v[40:41], v[0:1], v[228:229]
	v_add_f64 v[44:45], v[40:41], v[232:233]
	;; [unrolled: 1-line block ×3, first 2 shown]
	v_fmac_f64_e32 v[0:1], -0.5, v[40:41]
	v_add_f64 v[42:43], v[230:231], -v[234:235]
	v_fma_f64 v[40:41], s[2:3], v[42:43], v[0:1]
	v_fmac_f64_e32 v[0:1], s[4:5], v[42:43]
	v_add_f64 v[42:43], v[2:3], v[230:231]
	v_add_f64 v[46:47], v[42:43], v[234:235]
	;; [unrolled: 1-line block ×3, first 2 shown]
	v_fmac_f64_e32 v[2:3], -0.5, v[42:43]
	v_add_f64 v[120:121], v[228:229], -v[232:233]
	v_fma_f64 v[42:43], s[4:5], v[120:121], v[2:3]
	v_fmac_f64_e32 v[2:3], s[2:3], v[120:121]
	v_mul_u32_u24_e32 v120, 0x5a, v206
	v_add_lshl_u32 v120, v120, v207, 4
	buffer_store_dword v120, off, s[36:39], 0 offset:172 ; 4-byte Folded Spill
	ds_write_b128 v120, v[116:119]
	ds_write_b128 v120, v[108:111] offset:480
	ds_write_b128 v120, v[36:39] offset:960
	v_mul_u32_u24_e32 v36, 0x5a, v204
	v_add_lshl_u32 v36, v36, v205, 4
	ds_write_b128 v36, v[112:115]
	buffer_store_dword v36, off, s[36:39], 0 offset:176 ; 4-byte Folded Spill
	ds_write_b128 v36, v[104:107] offset:480
	ds_write_b128 v36, v[32:35] offset:960
	v_mul_u32_u24_e32 v32, 0x5a, v192
	v_add_lshl_u32 v32, v32, v200, 4
	ds_write_b128 v32, v[100:103]
	buffer_store_dword v32, off, s[36:39], 0 offset:180 ; 4-byte Folded Spill
	ds_write_b128 v32, v[96:99] offset:480
	ds_write_b128 v32, v[28:31] offset:960
	v_mad_legacy_u16 v28, v127, s30, v193
	v_lshlrev_b32_e32 v28, 4, v28
	ds_write_b128 v28, v[92:95]
	buffer_store_dword v28, off, s[36:39], 0 offset:200 ; 4-byte Folded Spill
	ds_write_b128 v28, v[88:91] offset:480
	ds_write_b128 v28, v[24:27] offset:960
	v_mad_legacy_u16 v24, v172, s30, v194
	v_lshlrev_b32_e32 v24, 4, v24
	;; [unrolled: 6-line block ×7, first 2 shown]
	v_lshlrev_b32_e32 v120, 5, v236
	ds_write_b128 v4, v[44:47]
	buffer_store_dword v4, off, s[36:39], 0 offset:528 ; 4-byte Folded Spill
	ds_write_b128 v4, v[40:43] offset:480
	ds_write_b128 v4, v[0:3] offset:960
	s_waitcnt lgkmcnt(0)
	s_barrier
	ds_read_b128 v[36:39], v177
	ds_read_b128 v[116:119], v177 offset:12960
	ds_read_b128 v[112:115], v177 offset:25920
	;; [unrolled: 1-line block ×29, first 2 shown]
	global_load_dwordx4 v[128:131], v120, s[10:11] offset:1296
	global_load_dwordx4 v[132:135], v120, s[10:11] offset:1280
	v_add_co_u32_e32 v127, vcc, s10, v120
	v_addc_co_u32_e32 v194, vcc, 0, v126, vcc
	s_waitcnt vmcnt(0) lgkmcnt(14)
	v_mul_f64 v[120:121], v[118:119], v[134:135]
	v_mul_f64 v[124:125], v[116:117], v[134:135]
	v_fma_f64 v[122:123], v[116:117], v[132:133], -v[120:121]
	v_fmac_f64_e32 v[124:125], v[118:119], v[132:133]
	v_pk_mov_b32 v[118:119], v[128:129], v[128:129] op_sel:[0,1]
	v_pk_mov_b32 v[120:121], v[130:131], v[130:131] op_sel:[0,1]
	v_mul_f64 v[116:117], v[114:115], v[120:121]
	v_fma_f64 v[192:193], v[112:113], v[118:119], -v[116:117]
	v_mul_f64 v[128:129], v[112:113], v[120:121]
	v_add_co_u32_e32 v112, vcc, -9, v236
	v_accvgpr_write_b32 a143, v121
	v_addc_co_u32_e64 v113, s[30:31], 0, -1, vcc
	v_cmp_gt_u16_e32 vcc, 9, v236
	v_accvgpr_write_b32 a142, v120
	v_accvgpr_write_b32 a141, v119
	;; [unrolled: 1-line block ×3, first 2 shown]
	v_cndmask_b32_e32 v121, v113, v190, vcc
	v_cndmask_b32_e32 v120, v112, v175, vcc
	v_lshlrev_b64 v[112:113], 5, v[120:121]
	v_add_co_u32_e32 v112, vcc, s10, v112
	v_accvgpr_write_b32 a147, v135
	v_addc_co_u32_e32 v113, vcc, v126, v113, vcc
	v_accvgpr_write_b32 a146, v134
	v_accvgpr_write_b32 a145, v133
	;; [unrolled: 1-line block ×3, first 2 shown]
	v_fmac_f64_e32 v[128:129], v[114:115], v[118:119]
	global_load_dwordx4 v[114:117], v[112:113], off offset:1296
	global_load_dwordx4 v[134:137], v[112:113], off offset:1280
	s_movk_i32 s30, 0xb7
	s_waitcnt vmcnt(1)
	v_accvgpr_write_b32 a135, v117
	s_waitcnt vmcnt(0)
	v_mul_f64 v[112:113], v[110:111], v[136:137]
	v_fma_f64 v[130:131], v[108:109], v[134:135], -v[112:113]
	v_mul_f64 v[132:133], v[108:109], v[136:137]
	v_accvgpr_write_b32 a139, v137
	v_mul_f64 v[108:109], v[106:107], v[116:117]
	v_fmac_f64_e32 v[132:133], v[110:111], v[134:135]
	v_accvgpr_write_b32 a138, v136
	v_accvgpr_write_b32 a137, v135
	;; [unrolled: 1-line block ×3, first 2 shown]
	v_fma_f64 v[134:135], v[104:105], v[114:115], -v[108:109]
	v_mul_f64 v[136:137], v[104:105], v[116:117]
	v_mul_lo_u16_sdwa v104, v189, s30 dst_sel:DWORD dst_unused:UNUSED_PAD src0_sel:BYTE_0 src1_sel:DWORD
	v_lshrrev_b16_e32 v201, 14, v104
	v_mul_lo_u16_e32 v104, 0x5a, v201
	v_sub_u16_e32 v104, v189, v104
	v_and_b32_e32 v206, 0xff, v104
	v_lshlrev_b32_e32 v104, 5, v206
	v_fmac_f64_e32 v[136:137], v[106:107], v[114:115]
	global_load_dwordx4 v[106:109], v104, s[10:11] offset:1296
	global_load_dwordx4 v[110:113], v104, s[10:11] offset:1280
	s_movk_i32 s11, 0x2d83
	v_accvgpr_write_b32 a134, v116
	v_accvgpr_write_b32 a133, v115
	;; [unrolled: 1-line block ×3, first 2 shown]
	s_movk_i32 s30, 0xffe5
	s_waitcnt vmcnt(1)
	v_mul_f64 v[144:145], v[96:97], v[108:109]
	s_waitcnt vmcnt(0)
	v_mul_f64 v[104:105], v[102:103], v[112:113]
	v_fma_f64 v[138:139], v[100:101], v[110:111], -v[104:105]
	v_mul_f64 v[140:141], v[100:101], v[112:113]
	v_mul_f64 v[100:101], v[98:99], v[108:109]
	v_fma_f64 v[142:143], v[96:97], v[106:107], -v[100:101]
	v_mul_u32_u24_sdwa v96, v187, s11 dst_sel:DWORD dst_unused:UNUSED_PAD src0_sel:WORD_0 src1_sel:DWORD
	v_lshrrev_b32_e32 v195, 20, v96
	v_mul_lo_u16_e32 v96, 0x5a, v195
	v_sub_u16_e32 v202, v187, v96
	v_lshlrev_b16_e32 v96, 5, v202
	v_add_co_u32_e32 v96, vcc, s10, v96
	v_addc_co_u32_e32 v97, vcc, 0, v126, vcc
	v_fmac_f64_e32 v[140:141], v[102:103], v[110:111]
	v_fmac_f64_e32 v[144:145], v[98:99], v[106:107]
	global_load_dwordx4 v[98:101], v[96:97], off offset:1296
	global_load_dwordx4 v[102:105], v[96:97], off offset:1280
	v_accvgpr_write_b32 a131, v113
	v_accvgpr_write_b32 a130, v112
	v_accvgpr_write_b32 a129, v111
	v_accvgpr_write_b32 a128, v110
	v_accvgpr_write_b32 a127, v109
	v_accvgpr_write_b32 a126, v108
	v_accvgpr_write_b32 a125, v107
	v_accvgpr_write_b32 a124, v106
	s_waitcnt vmcnt(1)
	v_mul_f64 v[152:153], v[88:89], v[100:101]
	s_waitcnt vmcnt(0)
	v_mul_f64 v[96:97], v[94:95], v[104:105]
	v_fma_f64 v[146:147], v[92:93], v[102:103], -v[96:97]
	v_mul_f64 v[148:149], v[92:93], v[104:105]
	v_mul_f64 v[92:93], v[90:91], v[100:101]
	v_fma_f64 v[150:151], v[88:89], v[98:99], -v[92:93]
	v_mul_u32_u24_sdwa v88, v186, s11 dst_sel:DWORD dst_unused:UNUSED_PAD src0_sel:WORD_0 src1_sel:DWORD
	v_lshrrev_b32_e32 v121, 20, v88
	v_mul_lo_u16_e32 v88, 0x5a, v121
	v_sub_u16_e32 v196, v186, v88
	v_lshlrev_b16_e32 v88, 5, v196
	v_add_co_u32_e32 v88, vcc, s10, v88
	v_addc_co_u32_e32 v89, vcc, 0, v126, vcc
	v_fmac_f64_e32 v[148:149], v[94:95], v[102:103]
	v_fmac_f64_e32 v[152:153], v[90:91], v[98:99]
	global_load_dwordx4 v[90:93], v[88:89], off offset:1296
	global_load_dwordx4 v[94:97], v[88:89], off offset:1280
	v_accvgpr_write_b32 a123, v105
	v_accvgpr_write_b32 a122, v104
	v_accvgpr_write_b32 a121, v103
	v_accvgpr_write_b32 a120, v102
	v_accvgpr_write_b32 a119, v101
	v_accvgpr_write_b32 a118, v100
	v_accvgpr_write_b32 a117, v99
	v_accvgpr_write_b32 a116, v98
	;; [unrolled: 27-line block ×3, first 2 shown]
	s_waitcnt vmcnt(1) lgkmcnt(12)
	v_mul_f64 v[168:169], v[72:73], v[84:85]
	s_waitcnt vmcnt(0)
	v_mul_f64 v[80:81], v[78:79], v[88:89]
	v_fma_f64 v[162:163], v[76:77], v[86:87], -v[80:81]
	v_mul_f64 v[164:165], v[76:77], v[88:89]
	v_mul_f64 v[76:77], v[74:75], v[84:85]
	v_fma_f64 v[166:167], v[72:73], v[82:83], -v[76:77]
	v_mul_u32_u24_sdwa v72, v183, s11 dst_sel:DWORD dst_unused:UNUSED_PAD src0_sel:WORD_0 src1_sel:DWORD
	v_lshrrev_b32_e32 v190, 20, v72
	v_mul_lo_u16_e32 v72, 0x5a, v190
	v_sub_u16_e32 v198, v183, v72
	v_lshlrev_b16_e32 v72, 5, v198
	v_add_co_u32_e32 v72, vcc, s10, v72
	v_addc_co_u32_e32 v73, vcc, 0, v126, vcc
	v_fmac_f64_e32 v[164:165], v[78:79], v[86:87]
	v_fmac_f64_e32 v[168:169], v[74:75], v[82:83]
	global_load_dwordx4 v[74:77], v[72:73], off offset:1296
	global_load_dwordx4 v[78:81], v[72:73], off offset:1280
	v_accvgpr_write_b32 a107, v89
	v_accvgpr_write_b32 a106, v88
	v_accvgpr_write_b32 a105, v87
	v_accvgpr_write_b32 a104, v86
	v_accvgpr_write_b32 a103, v85
	v_accvgpr_write_b32 a102, v84
	v_accvgpr_write_b32 a101, v83
	v_accvgpr_write_b32 a100, v82
	s_waitcnt vmcnt(1) lgkmcnt(9)
	v_mul_f64 v[210:211], v[64:65], v[76:77]
	s_waitcnt vmcnt(0)
	v_mul_f64 v[72:73], v[70:71], v[80:81]
	v_fma_f64 v[170:171], v[68:69], v[78:79], -v[72:73]
	v_mul_f64 v[172:173], v[68:69], v[80:81]
	v_mul_f64 v[68:69], v[66:67], v[76:77]
	v_fma_f64 v[208:209], v[64:65], v[74:75], -v[68:69]
	v_mul_u32_u24_sdwa v64, v180, s11 dst_sel:DWORD dst_unused:UNUSED_PAD src0_sel:WORD_0 src1_sel:DWORD
	v_lshrrev_b32_e32 v199, 20, v64
	v_mul_lo_u16_e32 v64, 0x5a, v199
	v_sub_u16_e32 v204, v180, v64
	v_lshlrev_b16_e32 v64, 5, v204
	v_add_co_u32_e32 v64, vcc, s10, v64
	v_addc_co_u32_e32 v65, vcc, 0, v126, vcc
	v_fmac_f64_e32 v[172:173], v[70:71], v[78:79]
	v_fmac_f64_e32 v[210:211], v[66:67], v[74:75]
	global_load_dwordx4 v[66:69], v[64:65], off offset:1296
	global_load_dwordx4 v[70:73], v[64:65], off offset:1280
	v_accvgpr_write_b32 a99, v81
	v_accvgpr_write_b32 a98, v80
	v_accvgpr_write_b32 a97, v79
	v_accvgpr_write_b32 a96, v78
	v_accvgpr_write_b32 a95, v77
	v_accvgpr_write_b32 a94, v76
	v_accvgpr_write_b32 a93, v75
	v_accvgpr_write_b32 a92, v74
	;; [unrolled: 27-line block ×3, first 2 shown]
	s_waitcnt vmcnt(1) lgkmcnt(3)
	v_mul_f64 v[226:227], v[48:49], v[60:61]
	s_waitcnt vmcnt(0)
	v_mul_f64 v[56:57], v[54:55], v[64:65]
	v_fma_f64 v[220:221], v[52:53], v[62:63], -v[56:57]
	v_mul_f64 v[222:223], v[52:53], v[64:65]
	v_mul_f64 v[52:53], v[50:51], v[60:61]
	v_fma_f64 v[224:225], v[48:49], v[58:59], -v[52:53]
	v_mul_u32_u24_sdwa v48, v181, s11 dst_sel:DWORD dst_unused:UNUSED_PAD src0_sel:WORD_0 src1_sel:DWORD
	v_lshrrev_b32_e32 v48, 20, v48
	v_mul_lo_u16_e32 v48, 0x5a, v48
	v_sub_u16_e32 v205, v181, v48
	v_lshlrev_b16_e32 v48, 5, v205
	v_add_co_u32_e32 v48, vcc, s10, v48
	v_addc_co_u32_e32 v49, vcc, 0, v126, vcc
	v_fmac_f64_e32 v[222:223], v[54:55], v[62:63]
	v_fmac_f64_e32 v[226:227], v[50:51], v[58:59]
	global_load_dwordx4 v[50:53], v[48:49], off offset:1296
	global_load_dwordx4 v[54:57], v[48:49], off offset:1280
	v_accvgpr_write_b32 a83, v65
	v_accvgpr_write_b32 a82, v64
	;; [unrolled: 1-line block ×4, first 2 shown]
	s_waitcnt lgkmcnt(0)
	s_barrier
	v_cmp_lt_u16_e32 vcc, 8, v236
	v_accvgpr_write_b32 a79, v61
	v_accvgpr_write_b32 a78, v60
	;; [unrolled: 1-line block ×4, first 2 shown]
	s_movk_i32 s11, 0x10e
	s_waitcnt vmcnt(1)
	v_mul_f64 v[234:235], v[40:41], v[52:53]
	s_waitcnt vmcnt(0)
	v_mul_f64 v[48:49], v[46:47], v[56:57]
	v_fma_f64 v[228:229], v[44:45], v[54:55], -v[48:49]
	v_mul_f64 v[230:231], v[44:45], v[56:57]
	v_mul_f64 v[44:45], v[42:43], v[52:53]
	v_fma_f64 v[232:233], v[40:41], v[50:51], -v[44:45]
	v_add_f64 v[40:41], v[36:37], v[122:123]
	v_add_f64 v[116:117], v[40:41], v[192:193]
	v_add_f64 v[40:41], v[122:123], v[192:193]
	v_fmac_f64_e32 v[36:37], -0.5, v[40:41]
	v_add_f64 v[40:41], v[124:125], -v[128:129]
	v_fma_f64 v[112:113], s[2:3], v[40:41], v[36:37]
	v_fmac_f64_e32 v[36:37], s[4:5], v[40:41]
	v_add_f64 v[40:41], v[38:39], v[124:125]
	v_add_f64 v[118:119], v[40:41], v[128:129]
	v_add_f64 v[40:41], v[124:125], v[128:129]
	v_fmac_f64_e32 v[38:39], -0.5, v[40:41]
	v_add_f64 v[40:41], v[122:123], -v[192:193]
	v_fma_f64 v[114:115], s[4:5], v[40:41], v[38:39]
	v_fmac_f64_e32 v[38:39], s[2:3], v[40:41]
	;; [unrolled: 7-line block ×13, first 2 shown]
	v_add_f64 v[40:41], v[14:15], v[172:173]
	v_add_f64 v[70:71], v[40:41], v[210:211]
	;; [unrolled: 1-line block ×3, first 2 shown]
	v_fmac_f64_e32 v[14:15], -0.5, v[40:41]
	v_add_f64 v[40:41], v[170:171], -v[208:209]
	ds_write_b128 v177, v[116:119]
	ds_write_b128 v177, v[112:115] offset:1440
	ds_write_b128 v177, v[36:39] offset:2880
	v_mov_b32_e32 v36, 0x10e
	v_fma_f64 v[66:67], s[4:5], v[40:41], v[14:15]
	v_fmac_f64_e32 v[14:15], s[2:3], v[40:41]
	v_add_f64 v[40:41], v[8:9], v[212:213]
	v_cndmask_b32_e32 v36, 0, v36, vcc
	v_add_f64 v[60:61], v[40:41], v[216:217]
	v_add_f64 v[40:41], v[212:213], v[216:217]
	v_add_lshl_u32 v36, v120, v36, 4
	v_accvgpr_write_b32 a75, v57
	v_fmac_f64_e32 v[8:9], -0.5, v[40:41]
	v_add_f64 v[40:41], v[214:215], -v[218:219]
	ds_write_b128 v36, v[108:111]
	buffer_store_dword v36, off, s[36:39], 0 offset:532 ; 4-byte Folded Spill
	ds_write_b128 v36, v[104:107] offset:1440
	ds_write_b128 v36, v[32:35] offset:2880
	v_mul_u32_u24_e32 v32, 0x10e, v201
	v_accvgpr_write_b32 a74, v56
	v_accvgpr_write_b32 a73, v55
	;; [unrolled: 1-line block ×3, first 2 shown]
	v_fma_f64 v[56:57], s[2:3], v[40:41], v[8:9]
	v_fmac_f64_e32 v[8:9], s[4:5], v[40:41]
	v_add_f64 v[40:41], v[10:11], v[214:215]
	v_add_lshl_u32 v32, v32, v206, 4
	v_add_f64 v[62:63], v[40:41], v[218:219]
	v_add_f64 v[40:41], v[214:215], v[218:219]
	ds_write_b128 v32, v[100:103]
	buffer_store_dword v32, off, s[36:39], 0 offset:536 ; 4-byte Folded Spill
	ds_write_b128 v32, v[96:99] offset:1440
	ds_write_b128 v32, v[28:31] offset:2880
	v_mad_legacy_u16 v28, v195, s11, v202
	v_fmac_f64_e32 v[10:11], -0.5, v[40:41]
	v_add_f64 v[40:41], v[212:213], -v[216:217]
	v_lshlrev_b32_e32 v28, 4, v28
	v_accvgpr_write_b32 a71, v53
	v_fma_f64 v[58:59], s[4:5], v[40:41], v[10:11]
	v_fmac_f64_e32 v[10:11], s[2:3], v[40:41]
	v_add_f64 v[40:41], v[4:5], v[220:221]
	ds_write_b128 v28, v[92:95]
	buffer_store_dword v28, off, s[36:39], 0 offset:540 ; 4-byte Folded Spill
	ds_write_b128 v28, v[88:91] offset:1440
	ds_write_b128 v28, v[24:27] offset:2880
	v_mad_legacy_u16 v24, v121, s11, v196
	v_accvgpr_write_b32 a70, v52
	v_accvgpr_write_b32 a69, v51
	;; [unrolled: 1-line block ×3, first 2 shown]
	v_add_f64 v[52:53], v[40:41], v[224:225]
	v_add_f64 v[40:41], v[220:221], v[224:225]
	v_lshlrev_b32_e32 v24, 4, v24
	v_fmac_f64_e32 v[4:5], -0.5, v[40:41]
	v_add_f64 v[40:41], v[222:223], -v[226:227]
	ds_write_b128 v24, v[84:87]
	buffer_store_dword v24, off, s[36:39], 0 offset:544 ; 4-byte Folded Spill
	ds_write_b128 v24, v[80:83] offset:1440
	ds_write_b128 v24, v[20:23] offset:2880
	v_mad_legacy_u16 v20, v197, s11, v203
	v_fma_f64 v[48:49], s[2:3], v[40:41], v[4:5]
	v_fmac_f64_e32 v[4:5], s[4:5], v[40:41]
	v_add_f64 v[40:41], v[6:7], v[222:223]
	v_lshlrev_b32_e32 v20, 4, v20
	v_fmac_f64_e32 v[230:231], v[46:47], v[54:55]
	v_add_f64 v[54:55], v[40:41], v[226:227]
	v_add_f64 v[40:41], v[222:223], v[226:227]
	ds_write_b128 v20, v[76:79]
	buffer_store_dword v20, off, s[36:39], 0 offset:820 ; 4-byte Folded Spill
	ds_write_b128 v20, v[72:75] offset:1440
	ds_write_b128 v20, v[16:19] offset:2880
	v_mad_legacy_u16 v16, v190, s11, v198
	v_fmac_f64_e32 v[6:7], -0.5, v[40:41]
	v_add_f64 v[40:41], v[220:221], -v[224:225]
	v_lshlrev_b32_e32 v16, 4, v16
	v_fmac_f64_e32 v[234:235], v[42:43], v[50:51]
	v_fma_f64 v[50:51], s[4:5], v[40:41], v[6:7]
	v_fmac_f64_e32 v[6:7], s[2:3], v[40:41]
	v_add_f64 v[40:41], v[0:1], v[228:229]
	ds_write_b128 v16, v[68:71]
	buffer_store_dword v16, off, s[36:39], 0 offset:816 ; 4-byte Folded Spill
	ds_write_b128 v16, v[64:67] offset:1440
	ds_write_b128 v16, v[12:15] offset:2880
	v_mad_legacy_u16 v12, v199, s11, v204
	v_add_f64 v[44:45], v[40:41], v[232:233]
	v_add_f64 v[40:41], v[228:229], v[232:233]
	v_lshlrev_b32_e32 v12, 4, v12
	v_fmac_f64_e32 v[0:1], -0.5, v[40:41]
	v_add_f64 v[42:43], v[230:231], -v[234:235]
	ds_write_b128 v12, v[60:63]
	buffer_store_dword v12, off, s[36:39], 0 offset:548 ; 4-byte Folded Spill
	ds_write_b128 v12, v[56:59] offset:1440
	ds_write_b128 v12, v[8:11] offset:2880
	v_mad_legacy_u16 v8, v191, s11, v200
	s_movk_i32 s11, 0x1040
	v_fma_f64 v[40:41], s[2:3], v[42:43], v[0:1]
	v_fmac_f64_e32 v[0:1], s[4:5], v[42:43]
	v_add_f64 v[42:43], v[2:3], v[230:231]
	v_add_co_u32_e32 v120, vcc, s11, v127
	v_add_f64 v[46:47], v[42:43], v[234:235]
	v_add_f64 v[42:43], v[230:231], v[234:235]
	v_addc_co_u32_e32 v121, vcc, 0, v194, vcc
	v_fmac_f64_e32 v[2:3], -0.5, v[42:43]
	v_add_f64 v[122:123], v[228:229], -v[232:233]
	v_lshlrev_b32_e32 v8, 4, v8
	v_add_co_u32_e32 v152, vcc, s28, v127
	v_fma_f64 v[42:43], s[4:5], v[122:123], v[2:3]
	v_fmac_f64_e32 v[2:3], s[2:3], v[122:123]
	ds_write_b128 v8, v[52:55]
	buffer_store_dword v8, off, s[36:39], 0 offset:552 ; 4-byte Folded Spill
	ds_write_b128 v8, v[48:51] offset:1440
	ds_write_b128 v8, v[4:7] offset:2880
	v_lshlrev_b32_e32 v4, 4, v205
	v_addc_co_u32_e32 v153, vcc, 0, v194, vcc
	ds_write_b128 v4, v[44:47] offset:34560
	buffer_store_dword v4, off, s[36:39], 0 offset:556 ; 4-byte Folded Spill
	ds_write_b128 v4, v[40:43] offset:36000
	ds_write_b128 v4, v[0:3] offset:37440
	s_waitcnt lgkmcnt(0)
	s_barrier
	ds_read_b128 v[36:39], v177
	ds_read_b128 v[116:119], v177 offset:12960
	ds_read_b128 v[112:115], v177 offset:25920
	;; [unrolled: 1-line block ×29, first 2 shown]
	global_load_dwordx4 v[132:135], v[152:153], off offset:64
	global_load_dwordx4 v[128:131], v[120:121], off offset:16
	v_mov_b32_e32 v224, v236
	s_waitcnt vmcnt(1) lgkmcnt(14)
	v_mul_f64 v[120:121], v[118:119], v[134:135]
	v_fma_f64 v[122:123], v[116:117], v[132:133], -v[120:121]
	v_mul_f64 v[124:125], v[116:117], v[134:135]
	s_waitcnt vmcnt(0)
	v_mul_f64 v[116:117], v[114:115], v[130:131]
	v_fma_f64 v[190:191], v[112:113], v[128:129], -v[116:117]
	v_mul_f64 v[112:113], v[112:113], v[130:131]
	v_fmac_f64_e32 v[112:113], v[114:115], v[128:129]
	v_lshlrev_b32_e32 v114, 5, v175
	v_add_co_u32_e32 v192, vcc, s10, v114
	v_addc_co_u32_e32 v193, vcc, 0, v126, vcc
	v_add_co_u32_e32 v114, vcc, s11, v192
	v_addc_co_u32_e32 v115, vcc, 0, v193, vcc
	v_add_co_u32_e32 v116, vcc, s28, v192
	v_accvgpr_write_b32 a64, v132
	v_addc_co_u32_e32 v117, vcc, 0, v193, vcc
	v_fmac_f64_e32 v[124:125], v[118:119], v[132:133]
	v_accvgpr_write_b32 a65, v133
	v_accvgpr_write_b32 a66, v134
	;; [unrolled: 1-line block ×3, first 2 shown]
	global_load_dwordx4 v[132:135], v[116:117], off offset:64
	s_nop 0
	global_load_dwordx4 v[116:119], v[114:115], off offset:16
	v_accvgpr_write_b32 a60, v128
	v_accvgpr_write_b32 a61, v129
	v_accvgpr_write_b32 a62, v130
	v_accvgpr_write_b32 a63, v131
	s_waitcnt vmcnt(1)
	v_mul_f64 v[114:115], v[110:111], v[134:135]
	v_fma_f64 v[128:129], v[108:109], v[132:133], -v[114:115]
	v_mul_f64 v[130:131], v[108:109], v[134:135]
	v_accvgpr_write_b32 a56, v132
	s_waitcnt vmcnt(0)
	v_mul_f64 v[108:109], v[106:107], v[118:119]
	v_fmac_f64_e32 v[130:131], v[110:111], v[132:133]
	v_accvgpr_write_b32 a57, v133
	v_accvgpr_write_b32 a58, v134
	;; [unrolled: 1-line block ×3, first 2 shown]
	v_fma_f64 v[132:133], v[104:105], v[116:117], -v[108:109]
	v_mul_f64 v[134:135], v[104:105], v[118:119]
	v_lshlrev_b32_e32 v104, 5, v189
	v_add_co_u32_e32 v189, vcc, s10, v104
	v_addc_co_u32_e32 v195, vcc, 0, v126, vcc
	v_add_co_u32_e32 v104, vcc, s11, v189
	v_addc_co_u32_e32 v105, vcc, 0, v195, vcc
	v_fmac_f64_e32 v[134:135], v[106:107], v[116:117]
	v_add_co_u32_e32 v106, vcc, s28, v189
	v_accvgpr_write_b32 a52, v116
	v_addc_co_u32_e32 v107, vcc, 0, v195, vcc
	v_accvgpr_write_b32 a53, v117
	v_accvgpr_write_b32 a54, v118
	;; [unrolled: 1-line block ×3, first 2 shown]
	global_load_dwordx4 v[114:117], v[106:107], off offset:64
	s_nop 0
	global_load_dwordx4 v[106:109], v[104:105], off offset:16
	s_waitcnt vmcnt(1)
	v_mul_f64 v[104:105], v[102:103], v[116:117]
	v_fma_f64 v[136:137], v[100:101], v[114:115], -v[104:105]
	v_mul_f64 v[138:139], v[100:101], v[116:117]
	s_waitcnt vmcnt(0)
	v_mul_f64 v[100:101], v[98:99], v[108:109]
	v_fma_f64 v[140:141], v[96:97], v[106:107], -v[100:101]
	v_mul_f64 v[142:143], v[96:97], v[108:109]
	v_add_co_u32_e32 v96, vcc, s30, v236
	v_addc_co_u32_e64 v97, s[30:31], 0, -1, vcc
	v_cmp_gt_u16_e32 vcc, 27, v236
	v_cndmask_b32_e32 v121, v97, v174, vcc
	v_cndmask_b32_e32 v120, v96, v187, vcc
	v_lshlrev_b64 v[96:97], 5, v[120:121]
	v_fmac_f64_e32 v[142:143], v[98:99], v[106:107]
	v_add_co_u32_e32 v98, vcc, s10, v96
	v_addc_co_u32_e32 v99, vcc, v126, v97, vcc
	v_add_co_u32_e32 v96, vcc, s11, v98
	v_addc_co_u32_e32 v97, vcc, 0, v99, vcc
	v_add_co_u32_e32 v98, vcc, s28, v98
	buffer_store_dword v224, off, s[36:39], 0 ; 4-byte Folded Spill
	v_addc_co_u32_e32 v99, vcc, 0, v99, vcc
	v_fmac_f64_e32 v[138:139], v[102:103], v[114:115]
	global_load_dwordx4 v[102:105], v[98:99], off offset:64
	s_nop 0
	global_load_dwordx4 v[98:101], v[96:97], off offset:16
	s_movk_i32 s30, 0x1700
	v_accvgpr_write_b32 a48, v114
	v_accvgpr_write_b32 a49, v115
	;; [unrolled: 1-line block ×8, first 2 shown]
	s_waitcnt vmcnt(1)
	v_mul_f64 v[96:97], v[94:95], v[104:105]
	v_fma_f64 v[144:145], v[92:93], v[102:103], -v[96:97]
	v_mul_f64 v[146:147], v[92:93], v[104:105]
	s_waitcnt vmcnt(0)
	v_mul_f64 v[92:93], v[90:91], v[100:101]
	v_fma_f64 v[148:149], v[88:89], v[98:99], -v[92:93]
	v_mul_f64 v[150:151], v[88:89], v[100:101]
	v_add_co_u32_e32 v88, vcc, s30, v127
	v_fmac_f64_e32 v[146:147], v[94:95], v[102:103]
	v_fmac_f64_e32 v[150:151], v[90:91], v[98:99]
	v_addc_co_u32_e32 v89, vcc, 0, v194, vcc
	global_load_dwordx4 v[94:97], v[152:153], off offset:1792
	global_load_dwordx4 v[90:93], v[88:89], off offset:16
	s_movk_i32 s30, 0x2120
	v_accvgpr_write_b32 a38, v102
	v_accvgpr_write_b32 a39, v103
	;; [unrolled: 1-line block ×8, first 2 shown]
	s_waitcnt vmcnt(1)
	v_mul_f64 v[88:89], v[86:87], v[96:97]
	v_fma_f64 v[152:153], v[84:85], v[94:95], -v[88:89]
	v_mul_f64 v[154:155], v[84:85], v[96:97]
	s_waitcnt vmcnt(0)
	v_mul_f64 v[84:85], v[82:83], v[92:93]
	v_fma_f64 v[156:157], v[80:81], v[90:91], -v[84:85]
	v_mul_f64 v[158:159], v[80:81], v[92:93]
	v_add_co_u32_e32 v80, vcc, s30, v127
	v_addc_co_u32_e32 v81, vcc, 0, v194, vcc
	v_fmac_f64_e32 v[158:159], v[82:83], v[90:91]
	v_add_co_u32_e32 v82, vcc, s29, v127
	v_addc_co_u32_e32 v83, vcc, 0, v194, vcc
	v_fmac_f64_e32 v[154:155], v[86:87], v[94:95]
	global_load_dwordx4 v[86:89], v[82:83], off offset:288
	s_nop 0
	global_load_dwordx4 v[82:85], v[80:81], off offset:16
	s_movk_i32 s29, 0x795d
	v_accvgpr_write_b32 a24, v94
	v_accvgpr_write_b32 a25, v95
	;; [unrolled: 1-line block ×8, first 2 shown]
	s_waitcnt vmcnt(1) lgkmcnt(13)
	v_mul_f64 v[80:81], v[78:79], v[88:89]
	v_fma_f64 v[160:161], v[76:77], v[86:87], -v[80:81]
	v_mul_f64 v[162:163], v[76:77], v[88:89]
	s_waitcnt vmcnt(0) lgkmcnt(12)
	v_mul_f64 v[76:77], v[74:75], v[84:85]
	v_fma_f64 v[164:165], v[72:73], v[82:83], -v[76:77]
	v_mul_f64 v[166:167], v[72:73], v[84:85]
	v_mul_u32_u24_sdwa v72, v183, s29 dst_sel:DWORD dst_unused:UNUSED_PAD src0_sel:WORD_0 src1_sel:DWORD
	v_lshrrev_b32_e32 v121, 23, v72
	v_mul_lo_u16_e32 v72, 0x10e, v121
	v_sub_u16_e32 v196, v183, v72
	v_lshlrev_b16_e32 v72, 5, v196
	v_fmac_f64_e32 v[166:167], v[74:75], v[82:83]
	v_add_co_u32_e32 v74, vcc, s10, v72
	v_addc_co_u32_e32 v75, vcc, 0, v126, vcc
	v_add_co_u32_e32 v72, vcc, s11, v74
	v_addc_co_u32_e32 v73, vcc, 0, v75, vcc
	v_add_co_u32_e32 v74, vcc, s28, v74
	v_addc_co_u32_e32 v75, vcc, 0, v75, vcc
	v_fmac_f64_e32 v[162:163], v[78:79], v[86:87]
	global_load_dwordx4 v[78:81], v[74:75], off offset:64
	s_nop 0
	global_load_dwordx4 v[74:77], v[72:73], off offset:16
	v_accvgpr_write_b32 a16, v86
	v_accvgpr_write_b32 a17, v87
	v_accvgpr_write_b32 a18, v88
	v_accvgpr_write_b32 a19, v89
	v_accvgpr_write_b32 a12, v82
	v_accvgpr_write_b32 a13, v83
	v_accvgpr_write_b32 a14, v84
	v_accvgpr_write_b32 a15, v85
	s_waitcnt vmcnt(1) lgkmcnt(10)
	v_mul_f64 v[72:73], v[70:71], v[80:81]
	v_fma_f64 v[168:169], v[68:69], v[78:79], -v[72:73]
	v_mul_f64 v[170:171], v[68:69], v[80:81]
	s_waitcnt vmcnt(0) lgkmcnt(9)
	v_mul_f64 v[68:69], v[66:67], v[76:77]
	v_fma_f64 v[172:173], v[64:65], v[74:75], -v[68:69]
	v_mul_f64 v[174:175], v[64:65], v[76:77]
	v_mul_u32_u24_sdwa v64, v180, s29 dst_sel:DWORD dst_unused:UNUSED_PAD src0_sel:WORD_0 src1_sel:DWORD
	v_lshrrev_b32_e32 v64, 23, v64
	v_mul_lo_u16_e32 v64, 0x10e, v64
	v_sub_u16_e32 v197, v180, v64
	v_lshlrev_b16_e32 v64, 5, v197
	v_fmac_f64_e32 v[174:175], v[66:67], v[74:75]
	v_add_co_u32_e32 v66, vcc, s10, v64
	v_addc_co_u32_e32 v67, vcc, 0, v126, vcc
	v_add_co_u32_e32 v64, vcc, s11, v66
	v_addc_co_u32_e32 v65, vcc, 0, v67, vcc
	;; [unrolled: 2-line block ×3, first 2 shown]
	v_fmac_f64_e32 v[170:171], v[70:71], v[78:79]
	global_load_dwordx4 v[70:73], v[66:67], off offset:64
	s_nop 0
	global_load_dwordx4 v[66:69], v[64:65], off offset:16
	v_accvgpr_write_b32 a8, v78
	v_accvgpr_write_b32 a9, v79
	;; [unrolled: 1-line block ×8, first 2 shown]
	s_waitcnt vmcnt(1) lgkmcnt(7)
	v_mul_f64 v[64:65], v[62:63], v[72:73]
	v_fma_f64 v[200:201], v[60:61], v[70:71], -v[64:65]
	v_mul_f64 v[202:203], v[60:61], v[72:73]
	s_waitcnt vmcnt(0) lgkmcnt(6)
	v_mul_f64 v[60:61], v[58:59], v[68:69]
	v_fma_f64 v[204:205], v[56:57], v[66:67], -v[60:61]
	v_mul_f64 v[206:207], v[56:57], v[68:69]
	v_mul_u32_u24_sdwa v56, v185, s29 dst_sel:DWORD dst_unused:UNUSED_PAD src0_sel:WORD_0 src1_sel:DWORD
	v_lshrrev_b32_e32 v56, 23, v56
	v_mul_lo_u16_e32 v56, 0x10e, v56
	v_sub_u16_e32 v198, v185, v56
	v_lshlrev_b16_e32 v56, 5, v198
	v_fmac_f64_e32 v[206:207], v[58:59], v[66:67]
	v_add_co_u32_e32 v58, vcc, s10, v56
	v_addc_co_u32_e32 v59, vcc, 0, v126, vcc
	v_add_co_u32_e32 v56, vcc, s11, v58
	v_addc_co_u32_e32 v57, vcc, 0, v59, vcc
	;; [unrolled: 2-line block ×3, first 2 shown]
	global_load_dwordx4 v[238:241], v[58:59], off offset:64
	global_load_dwordx4 v[242:245], v[56:57], off offset:16
	v_accvgpr_write_b32 a32, v70
	v_accvgpr_write_b32 a33, v71
	;; [unrolled: 1-line block ×8, first 2 shown]
	v_fmac_f64_e32 v[202:203], v[62:63], v[70:71]
	s_waitcnt vmcnt(1) lgkmcnt(4)
	v_mul_f64 v[56:57], v[54:55], v[240:241]
	v_fma_f64 v[208:209], v[52:53], v[238:239], -v[56:57]
	v_mul_f64 v[210:211], v[52:53], v[240:241]
	s_waitcnt vmcnt(0) lgkmcnt(3)
	v_mul_f64 v[52:53], v[50:51], v[244:245]
	v_fma_f64 v[212:213], v[48:49], v[242:243], -v[52:53]
	v_mul_f64 v[214:215], v[48:49], v[244:245]
	v_mul_u32_u24_sdwa v48, v181, s29 dst_sel:DWORD dst_unused:UNUSED_PAD src0_sel:WORD_0 src1_sel:DWORD
	v_lshrrev_b32_e32 v48, 23, v48
	v_mul_lo_u16_e32 v48, 0x10e, v48
	v_sub_u16_e32 v199, v181, v48
	v_lshlrev_b16_e32 v48, 5, v199
	v_fmac_f64_e32 v[214:215], v[50:51], v[242:243]
	v_add_co_u32_e32 v50, vcc, s10, v48
	v_addc_co_u32_e32 v51, vcc, 0, v126, vcc
	v_add_co_u32_e32 v48, vcc, s11, v50
	v_addc_co_u32_e32 v49, vcc, 0, v51, vcc
	v_add_co_u32_e32 v50, vcc, s28, v50
	v_addc_co_u32_e32 v51, vcc, 0, v51, vcc
	global_load_dwordx4 v[230:233], v[50:51], off offset:64
	global_load_dwordx4 v[234:237], v[48:49], off offset:16
	v_fmac_f64_e32 v[210:211], v[54:55], v[238:239]
	s_waitcnt lgkmcnt(0)
	s_barrier
	v_cmp_lt_u16_e32 vcc, 26, v224
	s_movk_i32 s11, 0x3200
	s_waitcnt vmcnt(1)
	v_mul_f64 v[48:49], v[46:47], v[232:233]
	v_fma_f64 v[216:217], v[44:45], v[230:231], -v[48:49]
	v_mul_f64 v[218:219], v[44:45], v[232:233]
	s_waitcnt vmcnt(0)
	v_mul_f64 v[44:45], v[42:43], v[236:237]
	v_fma_f64 v[220:221], v[40:41], v[234:235], -v[44:45]
	v_mul_f64 v[222:223], v[40:41], v[236:237]
	v_add_f64 v[40:41], v[36:37], v[122:123]
	v_add_f64 v[116:117], v[40:41], v[190:191]
	v_add_f64 v[40:41], v[122:123], v[190:191]
	v_fmac_f64_e32 v[36:37], -0.5, v[40:41]
	v_add_f64 v[40:41], v[124:125], -v[112:113]
	v_fma_f64 v[108:109], s[2:3], v[40:41], v[36:37]
	v_fmac_f64_e32 v[36:37], s[4:5], v[40:41]
	v_add_f64 v[40:41], v[38:39], v[124:125]
	v_add_f64 v[118:119], v[40:41], v[112:113]
	v_add_f64 v[40:41], v[124:125], v[112:113]
	v_fmac_f64_e32 v[38:39], -0.5, v[40:41]
	v_add_f64 v[40:41], v[122:123], -v[190:191]
	v_fma_f64 v[110:111], s[4:5], v[40:41], v[38:39]
	v_fmac_f64_e32 v[38:39], s[2:3], v[40:41]
	;; [unrolled: 7-line block ×18, first 2 shown]
	v_add_f64 v[40:41], v[0:1], v[216:217]
	ds_write_b128 v177, v[116:119]
	ds_write_b128 v177, v[108:111] offset:4320
	ds_write_b128 v177, v[36:39] offset:8640
	;; [unrolled: 1-line block ×8, first 2 shown]
	v_mov_b32_e32 v28, 0x32a
	v_fmac_f64_e32 v[218:219], v[46:47], v[230:231]
	v_fmac_f64_e32 v[222:223], v[42:43], v[234:235]
	v_add_f64 v[44:45], v[40:41], v[220:221]
	v_add_f64 v[40:41], v[216:217], v[220:221]
	v_cndmask_b32_e32 v28, 0, v28, vcc
	v_fmac_f64_e32 v[0:1], -0.5, v[40:41]
	v_add_f64 v[42:43], v[218:219], -v[222:223]
	v_add_lshl_u32 v247, v120, v28, 4
	v_fma_f64 v[40:41], s[2:3], v[42:43], v[0:1]
	v_fmac_f64_e32 v[0:1], s[4:5], v[42:43]
	v_add_f64 v[42:43], v[2:3], v[218:219]
	ds_write_b128 v247, v[92:95]
	ds_write_b128 v247, v[88:91] offset:4320
	ds_write_b128 v247, v[24:27] offset:8640
	ds_write_b128 v177, v[84:87] offset:13824
	ds_write_b128 v177, v[80:83] offset:18144
	ds_write_b128 v177, v[20:23] offset:22464
	ds_write_b128 v177, v[76:79] offset:15120
	ds_write_b128 v177, v[72:75] offset:19440
	ds_write_b128 v177, v[16:19] offset:23760
	v_mad_legacy_u16 v16, v121, s27, v196
	v_add_f64 v[46:47], v[42:43], v[222:223]
	v_add_f64 v[42:43], v[218:219], v[222:223]
	v_lshlrev_b32_e32 v16, 4, v16
	v_add_co_u32_e32 v120, vcc, s11, v127
	v_fmac_f64_e32 v[2:3], -0.5, v[42:43]
	v_add_f64 v[122:123], v[216:217], -v[220:221]
	ds_write_b128 v16, v[68:71]
	ds_write_b128 v16, v[64:67] offset:4320
	ds_write_b128 v16, v[12:15] offset:8640
	v_lshlrev_b32_e32 v12, 4, v197
	v_addc_co_u32_e32 v121, vcc, 0, v194, vcc
	v_fma_f64 v[42:43], s[4:5], v[122:123], v[2:3]
	v_fmac_f64_e32 v[2:3], s[2:3], v[122:123]
	ds_write_b128 v12, v[60:63] offset:25920
	ds_write_b128 v12, v[56:59] offset:30240
	;; [unrolled: 1-line block ×3, first 2 shown]
	v_lshlrev_b32_e32 v8, 4, v198
	v_add_co_u32_e32 v122, vcc, s26, v127
	ds_write_b128 v8, v[52:55] offset:25920
	ds_write_b128 v8, v[48:51] offset:30240
	;; [unrolled: 1-line block ×3, first 2 shown]
	v_lshlrev_b32_e32 v4, 4, v199
	v_addc_co_u32_e32 v123, vcc, 0, v194, vcc
	v_accvgpr_write_b32 a42, v16
	v_accvgpr_write_b32 a217, v12
	v_accvgpr_write_b32 a216, v8
	ds_write_b128 v4, v[44:47] offset:25920
	ds_write_b128 v4, v[40:43] offset:30240
	ds_write_b128 v4, v[0:3] offset:34560
	v_accvgpr_write_b32 a43, v4
	s_waitcnt lgkmcnt(0)
	s_barrier
	ds_read_b128 v[36:39], v177
	ds_read_b128 v[116:119], v177 offset:12960
	ds_read_b128 v[112:115], v177 offset:25920
	;; [unrolled: 1-line block ×29, first 2 shown]
	global_load_dwordx4 v[222:225], v[122:123], off offset:512
	global_load_dwordx4 v[226:229], v[120:121], off offset:16
	s_waitcnt vmcnt(1) lgkmcnt(14)
	v_mul_f64 v[120:121], v[118:119], v[224:225]
	v_fma_f64 v[120:121], v[116:117], v[222:223], -v[120:121]
	v_mul_f64 v[122:123], v[116:117], v[224:225]
	s_waitcnt vmcnt(0)
	v_mul_f64 v[116:117], v[114:115], v[228:229]
	v_fma_f64 v[124:125], v[112:113], v[226:227], -v[116:117]
	v_mul_f64 v[112:113], v[112:113], v[228:229]
	v_fmac_f64_e32 v[112:113], v[114:115], v[226:227]
	v_add_co_u32_e32 v114, vcc, s11, v192
	v_addc_co_u32_e32 v115, vcc, 0, v193, vcc
	v_add_co_u32_e32 v116, vcc, s26, v192
	v_addc_co_u32_e32 v117, vcc, 0, v193, vcc
	global_load_dwordx4 v[214:217], v[116:117], off offset:512
	global_load_dwordx4 v[218:221], v[114:115], off offset:16
	v_fmac_f64_e32 v[122:123], v[118:119], v[222:223]
	s_waitcnt vmcnt(1)
	v_mul_f64 v[114:115], v[110:111], v[216:217]
	v_fma_f64 v[114:115], v[108:109], v[214:215], -v[114:115]
	v_mul_f64 v[128:129], v[108:109], v[216:217]
	s_waitcnt vmcnt(0)
	v_mul_f64 v[108:109], v[106:107], v[220:221]
	v_fma_f64 v[130:131], v[104:105], v[218:219], -v[108:109]
	v_mul_f64 v[132:133], v[104:105], v[220:221]
	v_add_co_u32_e32 v104, vcc, s11, v189
	v_addc_co_u32_e32 v105, vcc, 0, v195, vcc
	v_fmac_f64_e32 v[132:133], v[106:107], v[218:219]
	v_add_co_u32_e32 v106, vcc, s26, v189
	v_addc_co_u32_e32 v107, vcc, 0, v195, vcc
	global_load_dwordx4 v[206:209], v[106:107], off offset:512
	global_load_dwordx4 v[210:213], v[104:105], off offset:16
	v_fmac_f64_e32 v[128:129], v[110:111], v[214:215]
	s_waitcnt vmcnt(1)
	v_mul_f64 v[104:105], v[102:103], v[208:209]
	v_fma_f64 v[134:135], v[100:101], v[206:207], -v[104:105]
	v_mul_f64 v[248:249], v[100:101], v[208:209]
	s_waitcnt vmcnt(0)
	v_mul_f64 v[100:101], v[98:99], v[212:213]
	v_fma_f64 v[250:251], v[96:97], v[210:211], -v[100:101]
	v_mul_f64 v[252:253], v[96:97], v[212:213]
	v_lshlrev_b32_e32 v96, 5, v187
	v_fmac_f64_e32 v[252:253], v[98:99], v[210:211]
	v_add_co_u32_e32 v98, vcc, s10, v96
	v_addc_co_u32_e32 v99, vcc, 0, v126, vcc
	v_add_co_u32_e32 v96, vcc, s11, v98
	v_addc_co_u32_e32 v97, vcc, 0, v99, vcc
	;; [unrolled: 2-line block ×3, first 2 shown]
	global_load_dwordx4 v[198:201], v[98:99], off offset:512
	global_load_dwordx4 v[202:205], v[96:97], off offset:16
	v_fmac_f64_e32 v[248:249], v[102:103], v[206:207]
	s_waitcnt vmcnt(1)
	v_mul_f64 v[96:97], v[94:95], v[200:201]
	v_fma_f64 v[254:255], v[92:93], v[198:199], -v[96:97]
	v_mul_f64 v[92:93], v[92:93], v[200:201]
	v_fmac_f64_e32 v[92:93], v[94:95], v[198:199]
	s_waitcnt vmcnt(0)
	v_mul_f64 v[94:95], v[90:91], v[204:205]
	v_fma_f64 v[94:95], v[88:89], v[202:203], -v[94:95]
	v_mul_f64 v[88:89], v[88:89], v[204:205]
	v_fmac_f64_e32 v[88:89], v[90:91], v[202:203]
	v_lshlrev_b32_e32 v90, 5, v186
	v_add_co_u32_e32 v96, vcc, s10, v90
	v_addc_co_u32_e32 v97, vcc, 0, v126, vcc
	v_add_co_u32_e32 v90, vcc, s11, v96
	v_addc_co_u32_e32 v91, vcc, 0, v97, vcc
	;; [unrolled: 2-line block ×3, first 2 shown]
	global_load_dwordx4 v[190:193], v[96:97], off offset:512
	global_load_dwordx4 v[194:197], v[90:91], off offset:16
	s_waitcnt vmcnt(1)
	v_mul_f64 v[90:91], v[86:87], v[192:193]
	v_fma_f64 v[90:91], v[84:85], v[190:191], -v[90:91]
	v_mul_f64 v[84:85], v[84:85], v[192:193]
	v_fmac_f64_e32 v[84:85], v[86:87], v[190:191]
	s_waitcnt vmcnt(0)
	v_mul_f64 v[86:87], v[82:83], v[196:197]
	v_fma_f64 v[86:87], v[80:81], v[194:195], -v[86:87]
	v_mul_f64 v[80:81], v[80:81], v[196:197]
	v_fmac_f64_e32 v[80:81], v[82:83], v[194:195]
	v_lshlrev_b32_e32 v82, 5, v188
	v_add_co_u32_e32 v96, vcc, s10, v82
	v_addc_co_u32_e32 v97, vcc, 0, v126, vcc
	v_add_co_u32_e32 v82, vcc, s11, v96
	v_addc_co_u32_e32 v83, vcc, 0, v97, vcc
	;; [unrolled: 2-line block ×3, first 2 shown]
	global_load_dwordx4 v[172:175], v[96:97], off offset:512
	global_load_dwordx4 v[186:189], v[82:83], off offset:16
	s_waitcnt vmcnt(1) lgkmcnt(13)
	v_mul_f64 v[82:83], v[78:79], v[174:175]
	v_fma_f64 v[82:83], v[76:77], v[172:173], -v[82:83]
	v_mul_f64 v[76:77], v[76:77], v[174:175]
	v_fmac_f64_e32 v[76:77], v[78:79], v[172:173]
	s_waitcnt vmcnt(0) lgkmcnt(12)
	v_mul_f64 v[78:79], v[74:75], v[188:189]
	v_fma_f64 v[78:79], v[72:73], v[186:187], -v[78:79]
	v_mul_f64 v[72:73], v[72:73], v[188:189]
	v_fmac_f64_e32 v[72:73], v[74:75], v[186:187]
	v_lshlrev_b32_e32 v74, 5, v183
	v_add_co_u32_e32 v96, vcc, s10, v74
	v_addc_co_u32_e32 v97, vcc, 0, v126, vcc
	v_add_co_u32_e32 v74, vcc, s11, v96
	v_addc_co_u32_e32 v75, vcc, 0, v97, vcc
	v_add_co_u32_e32 v96, vcc, s26, v96
	v_addc_co_u32_e32 v97, vcc, 0, v97, vcc
	global_load_dwordx4 v[164:167], v[96:97], off offset:512
	global_load_dwordx4 v[168:171], v[74:75], off offset:16
	s_waitcnt vmcnt(1) lgkmcnt(10)
	v_mul_f64 v[74:75], v[70:71], v[166:167]
	v_fma_f64 v[136:137], v[68:69], v[164:165], -v[74:75]
	v_mul_f64 v[138:139], v[68:69], v[166:167]
	s_waitcnt vmcnt(0) lgkmcnt(9)
	v_mul_f64 v[68:69], v[66:67], v[170:171]
	v_fma_f64 v[68:69], v[64:65], v[168:169], -v[68:69]
	v_mul_f64 v[64:65], v[64:65], v[170:171]
	v_fmac_f64_e32 v[64:65], v[66:67], v[168:169]
	v_lshlrev_b32_e32 v66, 5, v180
	v_fmac_f64_e32 v[138:139], v[70:71], v[164:165]
	v_add_co_u32_e32 v70, vcc, s10, v66
	v_addc_co_u32_e32 v71, vcc, 0, v126, vcc
	v_add_co_u32_e32 v66, vcc, s11, v70
	v_addc_co_u32_e32 v67, vcc, 0, v71, vcc
	;; [unrolled: 2-line block ×3, first 2 shown]
	global_load_dwordx4 v[156:159], v[70:71], off offset:512
	global_load_dwordx4 v[160:163], v[66:67], off offset:16
	s_waitcnt vmcnt(1) lgkmcnt(7)
	v_mul_f64 v[66:67], v[62:63], v[158:159]
	v_fma_f64 v[66:67], v[60:61], v[156:157], -v[66:67]
	v_mul_f64 v[60:61], v[60:61], v[158:159]
	v_fmac_f64_e32 v[60:61], v[62:63], v[156:157]
	s_waitcnt vmcnt(0) lgkmcnt(6)
	v_mul_f64 v[62:63], v[58:59], v[162:163]
	v_fma_f64 v[62:63], v[56:57], v[160:161], -v[62:63]
	v_mul_f64 v[56:57], v[56:57], v[162:163]
	v_fmac_f64_e32 v[56:57], v[58:59], v[160:161]
	v_lshlrev_b32_e32 v58, 5, v185
	v_add_co_u32_e32 v70, vcc, s10, v58
	v_addc_co_u32_e32 v71, vcc, 0, v126, vcc
	v_add_co_u32_e32 v58, vcc, s11, v70
	v_addc_co_u32_e32 v59, vcc, 0, v71, vcc
	;; [unrolled: 2-line block ×3, first 2 shown]
	global_load_dwordx4 v[148:151], v[70:71], off offset:512
	global_load_dwordx4 v[152:155], v[58:59], off offset:16
	s_waitcnt vmcnt(1) lgkmcnt(4)
	v_mul_f64 v[58:59], v[54:55], v[150:151]
	v_fma_f64 v[58:59], v[52:53], v[148:149], -v[58:59]
	v_mul_f64 v[52:53], v[52:53], v[150:151]
	v_fmac_f64_e32 v[52:53], v[54:55], v[148:149]
	s_waitcnt vmcnt(0) lgkmcnt(3)
	v_mul_f64 v[54:55], v[50:51], v[154:155]
	v_fma_f64 v[54:55], v[48:49], v[152:153], -v[54:55]
	v_mul_f64 v[48:49], v[48:49], v[154:155]
	v_fmac_f64_e32 v[48:49], v[50:51], v[152:153]
	v_lshlrev_b32_e32 v50, 5, v181
	v_add_co_u32_e32 v70, vcc, s10, v50
	v_addc_co_u32_e32 v71, vcc, 0, v126, vcc
	v_add_co_u32_e32 v50, vcc, s11, v70
	v_addc_co_u32_e32 v51, vcc, 0, v71, vcc
	;; [unrolled: 2-line block ×3, first 2 shown]
	global_load_dwordx4 v[140:143], v[70:71], off offset:512
	global_load_dwordx4 v[144:147], v[50:51], off offset:16
	v_add_f64 v[70:71], v[128:129], v[132:133]
	s_mov_b32 s10, 0x97e0
	s_waitcnt vmcnt(1) lgkmcnt(1)
	v_mul_f64 v[50:51], v[46:47], v[142:143]
	v_fma_f64 v[180:181], v[44:45], v[140:141], -v[50:51]
	v_mul_f64 v[44:45], v[44:45], v[142:143]
	v_fmac_f64_e32 v[44:45], v[46:47], v[140:141]
	s_waitcnt vmcnt(0) lgkmcnt(0)
	v_mul_f64 v[46:47], v[42:43], v[146:147]
	v_fma_f64 v[46:47], v[40:41], v[144:145], -v[46:47]
	v_mul_f64 v[50:51], v[40:41], v[146:147]
	v_add_f64 v[40:41], v[36:37], v[120:121]
	v_add_f64 v[116:117], v[40:41], v[124:125]
	;; [unrolled: 1-line block ×3, first 2 shown]
	v_fmac_f64_e32 v[36:37], -0.5, v[40:41]
	v_add_f64 v[40:41], v[122:123], -v[112:113]
	v_fma_f64 v[108:109], s[2:3], v[40:41], v[36:37]
	v_fmac_f64_e32 v[36:37], s[4:5], v[40:41]
	v_add_f64 v[40:41], v[38:39], v[122:123]
	v_add_f64 v[118:119], v[40:41], v[112:113]
	;; [unrolled: 1-line block ×3, first 2 shown]
	v_fmac_f64_e32 v[50:51], v[42:43], v[144:145]
	v_fmac_f64_e32 v[38:39], -0.5, v[40:41]
	v_add_f64 v[40:41], v[120:121], -v[124:125]
	v_add_f64 v[42:43], v[114:115], v[130:131]
	v_fma_f64 v[110:111], s[4:5], v[40:41], v[38:39]
	v_fmac_f64_e32 v[38:39], s[2:3], v[40:41]
	v_add_f64 v[40:41], v[32:33], v[114:115]
	v_fmac_f64_e32 v[32:33], -0.5, v[42:43]
	v_add_f64 v[42:43], v[128:129], -v[132:133]
	v_fma_f64 v[104:105], s[2:3], v[42:43], v[32:33]
	v_fmac_f64_e32 v[32:33], s[4:5], v[42:43]
	v_add_f64 v[42:43], v[34:35], v[128:129]
	v_fmac_f64_e32 v[34:35], -0.5, v[70:71]
	v_add_f64 v[70:71], v[114:115], -v[130:131]
	v_fma_f64 v[106:107], s[4:5], v[70:71], v[34:35]
	v_fmac_f64_e32 v[34:35], s[2:3], v[70:71]
	v_add_f64 v[70:71], v[28:29], v[134:135]
	v_add_f64 v[100:101], v[70:71], v[250:251]
	v_add_f64 v[70:71], v[134:135], v[250:251]
	v_fmac_f64_e32 v[28:29], -0.5, v[70:71]
	v_add_f64 v[70:71], v[248:249], -v[252:253]
	v_fma_f64 v[96:97], s[2:3], v[70:71], v[28:29]
	v_fmac_f64_e32 v[28:29], s[4:5], v[70:71]
	v_add_f64 v[70:71], v[30:31], v[248:249]
	v_add_f64 v[102:103], v[70:71], v[252:253]
	;; [unrolled: 7-line block ×8, first 2 shown]
	v_add_f64 v[70:71], v[76:77], v[72:73]
	v_fmac_f64_e32 v[18:19], -0.5, v[70:71]
	v_add_f64 v[70:71], v[82:83], -v[78:79]
	v_add_f64 v[72:73], v[136:137], v[68:69]
	v_fma_f64 v[76:77], s[4:5], v[70:71], v[18:19]
	v_fmac_f64_e32 v[18:19], s[2:3], v[70:71]
	v_add_f64 v[70:71], v[12:13], v[136:137]
	v_fmac_f64_e32 v[12:13], -0.5, v[72:73]
	v_add_f64 v[72:73], v[138:139], -v[64:65]
	v_fma_f64 v[112:113], s[2:3], v[72:73], v[12:13]
	v_fmac_f64_e32 v[12:13], s[4:5], v[72:73]
	v_add_f64 v[72:73], v[14:15], v[138:139]
	v_add_f64 v[72:73], v[72:73], v[64:65]
	v_add_f64 v[64:65], v[138:139], v[64:65]
	v_fmac_f64_e32 v[14:15], -0.5, v[64:65]
	v_add_f64 v[64:65], v[136:137], -v[68:69]
	v_fma_f64 v[114:115], s[4:5], v[64:65], v[14:15]
	v_fmac_f64_e32 v[14:15], s[2:3], v[64:65]
	v_add_f64 v[64:65], v[8:9], v[66:67]
	v_add_f64 v[128:129], v[64:65], v[62:63]
	v_add_f64 v[64:65], v[66:67], v[62:63]
	v_add_f64 v[70:71], v[70:71], v[68:69]
	v_fmac_f64_e32 v[8:9], -0.5, v[64:65]
	v_add_f64 v[68:69], v[60:61], -v[56:57]
	v_fma_f64 v[64:65], s[2:3], v[68:69], v[8:9]
	v_fmac_f64_e32 v[8:9], s[4:5], v[68:69]
	v_add_f64 v[68:69], v[10:11], v[60:61]
	;; [unrolled: 8-line block ×3, first 2 shown]
	v_add_f64 v[60:61], v[56:57], v[54:55]
	v_add_f64 v[56:57], v[58:59], v[54:55]
	v_fmac_f64_e32 v[4:5], -0.5, v[56:57]
	v_add_f64 v[56:57], v[52:53], -v[48:49]
	v_add_f64 v[42:43], v[42:43], v[132:133]
	v_fma_f64 v[132:133], s[2:3], v[56:57], v[4:5]
	v_fmac_f64_e32 v[4:5], s[4:5], v[56:57]
	v_add_f64 v[56:57], v[6:7], v[52:53]
	v_add_f64 v[62:63], v[56:57], v[48:49]
	;; [unrolled: 1-line block ×3, first 2 shown]
	v_fmac_f64_e32 v[6:7], -0.5, v[48:49]
	v_add_f64 v[48:49], v[58:59], -v[54:55]
	v_fma_f64 v[134:135], s[4:5], v[48:49], v[6:7]
	v_fmac_f64_e32 v[6:7], s[2:3], v[48:49]
	v_add_f64 v[48:49], v[0:1], v[180:181]
	v_add_f64 v[54:55], v[48:49], v[46:47]
	;; [unrolled: 1-line block ×3, first 2 shown]
	v_fmac_f64_e32 v[0:1], -0.5, v[48:49]
	v_add_f64 v[48:49], v[44:45], -v[50:51]
	v_fma_f64 v[78:79], s[2:3], v[48:49], v[0:1]
	v_fmac_f64_e32 v[0:1], s[4:5], v[48:49]
	v_add_f64 v[48:49], v[2:3], v[44:45]
	v_add_f64 v[44:45], v[44:45], v[50:51]
	v_fmac_f64_e32 v[2:3], -0.5, v[44:45]
	v_add_f64 v[44:45], v[180:181], -v[46:47]
	v_add_f64 v[56:57], v[48:49], v[50:51]
	v_fma_f64 v[80:81], s[4:5], v[44:45], v[2:3]
	v_fmac_f64_e32 v[2:3], s[2:3], v[44:45]
	ds_write_b128 v177, v[116:119]
	ds_write_b128 v177, v[108:111] offset:12960
	ds_write_b128 v177, v[36:39] offset:25920
	;; [unrolled: 1-line block ×29, first 2 shown]
	v_accvgpr_read_b32 v4, a36
	v_accvgpr_read_b32 v5, a37
	s_waitcnt lgkmcnt(0)
	s_barrier
	global_load_dwordx4 v[4:7], v[4:5], off offset:2016
	ds_read_b128 v[0:3], v177
	v_add_co_u32_e32 v20, vcc, s10, v178
	v_addc_co_u32_e32 v21, vcc, 0, v176, vcc
	s_mov_b32 s10, 0xb000
	v_add_co_u32_e32 v18, vcc, s10, v178
	v_addc_co_u32_e32 v19, vcc, 0, v176, vcc
	s_mov_b32 s10, 0xc000
	;; [unrolled: 3-line block ×5, first 2 shown]
	s_waitcnt vmcnt(0) lgkmcnt(0)
	v_mul_f64 v[8:9], v[2:3], v[6:7]
	v_mul_f64 v[10:11], v[0:1], v[6:7]
	v_fma_f64 v[8:9], v[0:1], v[4:5], -v[8:9]
	v_fmac_f64_e32 v[10:11], v[2:3], v[4:5]
	global_load_dwordx4 v[4:7], v[20:21], off offset:3888
	ds_read_b128 v[0:3], v177 offset:3888
	ds_write_b128 v177, v[8:11]
	s_waitcnt vmcnt(0) lgkmcnt(1)
	v_mul_f64 v[8:9], v[2:3], v[6:7]
	v_mul_f64 v[10:11], v[0:1], v[6:7]
	v_fma_f64 v[8:9], v[0:1], v[4:5], -v[8:9]
	v_fmac_f64_e32 v[10:11], v[2:3], v[4:5]
	global_load_dwordx4 v[4:7], v[18:19], off offset:1600
	ds_read_b128 v[0:3], v177 offset:7776
	ds_write_b128 v177, v[8:11] offset:3888
	s_waitcnt vmcnt(0) lgkmcnt(1)
	v_mul_f64 v[8:9], v[2:3], v[6:7]
	v_mul_f64 v[10:11], v[0:1], v[6:7]
	v_fma_f64 v[8:9], v[0:1], v[4:5], -v[8:9]
	v_fmac_f64_e32 v[10:11], v[2:3], v[4:5]
	global_load_dwordx4 v[4:7], v[16:17], off offset:1392
	ds_read_b128 v[0:3], v177 offset:11664
	ds_write_b128 v177, v[8:11] offset:7776
	;; [unrolled: 8-line block ×4, first 2 shown]
	s_waitcnt vmcnt(0) lgkmcnt(1)
	v_mul_f64 v[8:9], v[2:3], v[6:7]
	v_mul_f64 v[10:11], v[0:1], v[6:7]
	v_fma_f64 v[8:9], v[0:1], v[4:5], -v[8:9]
	v_fmac_f64_e32 v[10:11], v[2:3], v[4:5]
	ds_write_b128 v177, v[8:11] offset:19440
	v_add_co_u32_e32 v10, vcc, s10, v178
	v_addc_co_u32_e32 v11, vcc, 0, v176, vcc
	global_load_dwordx4 v[4:7], v[10:11], off offset:768
	ds_read_b128 v[0:3], v177 offset:23328
	s_mov_b32 s10, 0x10000
	s_waitcnt vmcnt(0) lgkmcnt(0)
	v_mul_f64 v[8:9], v[2:3], v[6:7]
	v_fma_f64 v[22:23], v[0:1], v[4:5], -v[8:9]
	v_add_co_u32_e32 v8, vcc, s10, v178
	v_mul_f64 v[24:25], v[0:1], v[6:7]
	v_addc_co_u32_e32 v9, vcc, 0, v176, vcc
	v_fmac_f64_e32 v[24:25], v[2:3], v[4:5]
	global_load_dwordx4 v[4:7], v[8:9], off offset:560
	ds_read_b128 v[0:3], v177 offset:27216
	s_mov_b32 s10, 0x11000
	ds_write_b128 v177, v[22:25] offset:23328
	s_waitcnt vmcnt(0) lgkmcnt(1)
	v_mul_f64 v[22:23], v[2:3], v[6:7]
	v_mul_f64 v[24:25], v[0:1], v[6:7]
	v_add_co_u32_e32 v6, vcc, s10, v178
	v_fma_f64 v[22:23], v[0:1], v[4:5], -v[22:23]
	v_fmac_f64_e32 v[24:25], v[2:3], v[4:5]
	v_addc_co_u32_e32 v7, vcc, 0, v176, vcc
	ds_write_b128 v177, v[22:25] offset:27216
	global_load_dwordx4 v[22:25], v[6:7], off offset:352
	ds_read_b128 v[0:3], v177 offset:31104
	s_mov_b32 s10, 0x12000
	s_waitcnt vmcnt(0) lgkmcnt(0)
	v_mul_f64 v[4:5], v[2:3], v[24:25]
	v_fma_f64 v[26:27], v[0:1], v[22:23], -v[4:5]
	v_add_co_u32_e32 v4, vcc, s10, v178
	v_mul_f64 v[28:29], v[0:1], v[24:25]
	v_addc_co_u32_e32 v5, vcc, 0, v176, vcc
	v_fmac_f64_e32 v[28:29], v[2:3], v[22:23]
	global_load_dwordx4 v[22:25], v[4:5], off offset:144
	ds_read_b128 v[0:3], v177 offset:34992
	ds_write_b128 v177, v[26:29] offset:31104
	s_mov_b32 s10, 0xa000
	s_waitcnt vmcnt(0) lgkmcnt(1)
	v_mul_f64 v[26:27], v[2:3], v[24:25]
	v_mul_f64 v[28:29], v[0:1], v[24:25]
	v_fma_f64 v[26:27], v[0:1], v[22:23], -v[26:27]
	v_fmac_f64_e32 v[28:29], v[2:3], v[22:23]
	global_load_dwordx4 v[22:25], v[20:21], off offset:1296
	ds_read_b128 v[0:3], v177 offset:1296
	ds_write_b128 v177, v[26:29] offset:34992
	s_waitcnt vmcnt(0) lgkmcnt(1)
	v_mul_f64 v[26:27], v[2:3], v[24:25]
	v_mul_f64 v[28:29], v[0:1], v[24:25]
	v_fma_f64 v[26:27], v[0:1], v[22:23], -v[26:27]
	v_fmac_f64_e32 v[28:29], v[2:3], v[22:23]
	v_add_co_u32_e32 v22, vcc, s10, v178
	v_addc_co_u32_e32 v23, vcc, 0, v176, vcc
	global_load_dwordx4 v[22:25], v[22:23], off offset:3104
	ds_read_b128 v[0:3], v177 offset:5184
	ds_write_b128 v177, v[26:29] offset:1296
	s_waitcnt vmcnt(0) lgkmcnt(1)
	v_mul_f64 v[26:27], v[2:3], v[24:25]
	v_mul_f64 v[28:29], v[0:1], v[24:25]
	v_fma_f64 v[26:27], v[0:1], v[22:23], -v[26:27]
	v_fmac_f64_e32 v[28:29], v[2:3], v[22:23]
	global_load_dwordx4 v[22:25], v[18:19], off offset:2896
	ds_read_b128 v[0:3], v177 offset:9072
	ds_write_b128 v177, v[26:29] offset:5184
	s_waitcnt vmcnt(0) lgkmcnt(1)
	v_mul_f64 v[26:27], v[2:3], v[24:25]
	v_mul_f64 v[28:29], v[0:1], v[24:25]
	v_fma_f64 v[26:27], v[0:1], v[22:23], -v[26:27]
	v_fmac_f64_e32 v[28:29], v[2:3], v[22:23]
	;; [unrolled: 8-line block ×19, first 2 shown]
	ds_write_b128 v177, v[8:11] offset:37584
	s_waitcnt lgkmcnt(0)
	s_barrier
	ds_read_b128 v[64:67], v177
	ds_read_b128 v[84:87], v177 offset:3888
	ds_read_b128 v[116:119], v177 offset:7776
	;; [unrolled: 1-line block ×29, first 2 shown]
	s_waitcnt lgkmcnt(14)
	v_add_f64 v[16:17], v[64:65], v[116:117]
	v_add_f64 v[16:17], v[16:17], v[120:121]
	;; [unrolled: 1-line block ×5, first 2 shown]
	v_fma_f64 v[16:17], -0.5, v[16:17], v[64:65]
	v_add_f64 v[32:33], v[118:119], -v[130:131]
	v_fma_f64 v[38:39], s[16:17], v[32:33], v[16:17]
	v_add_f64 v[40:41], v[122:123], -v[126:127]
	v_add_f64 v[30:31], v[116:117], -v[120:121]
	;; [unrolled: 1-line block ×3, first 2 shown]
	v_fmac_f64_e32 v[16:17], s[8:9], v[32:33]
	v_fmac_f64_e32 v[38:39], s[18:19], v[40:41]
	v_add_f64 v[30:31], v[30:31], v[62:63]
	v_fmac_f64_e32 v[16:17], s[6:7], v[40:41]
	v_fmac_f64_e32 v[38:39], s[14:15], v[30:31]
	;; [unrolled: 1-line block ×3, first 2 shown]
	v_add_f64 v[30:31], v[116:117], v[128:129]
	v_fmac_f64_e32 v[64:65], -0.5, v[30:31]
	v_fma_f64 v[30:31], s[8:9], v[40:41], v[64:65]
	v_fmac_f64_e32 v[64:65], s[16:17], v[40:41]
	v_fmac_f64_e32 v[30:31], s[18:19], v[32:33]
	;; [unrolled: 1-line block ×3, first 2 shown]
	v_add_f64 v[32:33], v[66:67], v[118:119]
	v_add_f64 v[32:33], v[32:33], v[122:123]
	v_add_f64 v[62:63], v[120:121], -v[116:117]
	v_add_f64 v[114:115], v[124:125], -v[128:129]
	v_add_f64 v[32:33], v[32:33], v[126:127]
	v_add_f64 v[62:63], v[62:63], v[114:115]
	;; [unrolled: 1-line block ×4, first 2 shown]
	v_fmac_f64_e32 v[30:31], s[14:15], v[62:63]
	v_fmac_f64_e32 v[64:65], s[14:15], v[62:63]
	v_fma_f64 v[62:63], -0.5, v[32:33], v[66:67]
	v_add_f64 v[32:33], v[116:117], -v[128:129]
	v_fma_f64 v[40:41], s[8:9], v[32:33], v[62:63]
	v_add_f64 v[116:117], v[120:121], -v[124:125]
	v_add_f64 v[120:121], v[118:119], -v[122:123]
	;; [unrolled: 1-line block ×3, first 2 shown]
	v_fmac_f64_e32 v[62:63], s[16:17], v[32:33]
	v_fmac_f64_e32 v[40:41], s[6:7], v[116:117]
	v_add_f64 v[120:121], v[120:121], v[124:125]
	v_fmac_f64_e32 v[62:63], s[18:19], v[116:117]
	v_fmac_f64_e32 v[40:41], s[14:15], v[120:121]
	;; [unrolled: 1-line block ×3, first 2 shown]
	v_add_f64 v[120:121], v[118:119], v[130:131]
	v_fmac_f64_e32 v[66:67], -0.5, v[120:121]
	v_fma_f64 v[250:251], s[16:17], v[116:117], v[66:67]
	v_add_f64 v[118:119], v[122:123], -v[118:119]
	v_add_f64 v[120:121], v[126:127], -v[130:131]
	v_fmac_f64_e32 v[66:67], s[8:9], v[116:117]
	v_add_f64 v[116:117], v[92:93], v[96:97]
	v_fmac_f64_e32 v[250:251], s[6:7], v[32:33]
	v_add_f64 v[118:119], v[118:119], v[120:121]
	v_fmac_f64_e32 v[66:67], s[18:19], v[32:33]
	v_fma_f64 v[122:123], -0.5, v[116:117], v[84:85]
	v_add_f64 v[116:117], v[90:91], -v[102:103]
	v_fmac_f64_e32 v[250:251], s[14:15], v[118:119]
	v_fmac_f64_e32 v[66:67], s[14:15], v[118:119]
	v_fma_f64 v[118:119], s[16:17], v[116:117], v[122:123]
	v_add_f64 v[120:121], v[94:95], -v[98:99]
	v_add_f64 v[124:125], v[88:89], -v[92:93]
	;; [unrolled: 1-line block ×3, first 2 shown]
	v_fmac_f64_e32 v[122:123], s[8:9], v[116:117]
	v_fmac_f64_e32 v[118:119], s[18:19], v[120:121]
	v_add_f64 v[124:125], v[124:125], v[126:127]
	v_fmac_f64_e32 v[122:123], s[6:7], v[120:121]
	v_fmac_f64_e32 v[118:119], s[14:15], v[124:125]
	;; [unrolled: 1-line block ×3, first 2 shown]
	v_add_f64 v[124:125], v[88:89], v[100:101]
	v_add_f64 v[32:33], v[84:85], v[88:89]
	v_fmac_f64_e32 v[84:85], -0.5, v[124:125]
	v_fma_f64 v[126:127], s[8:9], v[120:121], v[84:85]
	v_fmac_f64_e32 v[84:85], s[16:17], v[120:121]
	v_fmac_f64_e32 v[126:127], s[18:19], v[116:117]
	;; [unrolled: 1-line block ×3, first 2 shown]
	v_add_f64 v[116:117], v[86:87], v[90:91]
	v_add_f64 v[116:117], v[116:117], v[94:95]
	;; [unrolled: 1-line block ×7, first 2 shown]
	v_add_f64 v[124:125], v[92:93], -v[88:89]
	v_fma_f64 v[116:117], -0.5, v[116:117], v[86:87]
	v_add_f64 v[88:89], v[88:89], -v[100:101]
	v_add_f64 v[32:33], v[32:33], v[100:101]
	v_add_f64 v[128:129], v[96:97], -v[100:101]
	v_fma_f64 v[100:101], s[8:9], v[88:89], v[116:117]
	v_add_f64 v[92:93], v[92:93], -v[96:97]
	v_add_f64 v[96:97], v[90:91], -v[94:95]
	;; [unrolled: 1-line block ×3, first 2 shown]
	v_fmac_f64_e32 v[116:117], s[16:17], v[88:89]
	v_fmac_f64_e32 v[100:101], s[6:7], v[92:93]
	v_add_f64 v[96:97], v[96:97], v[120:121]
	v_fmac_f64_e32 v[116:117], s[18:19], v[92:93]
	v_fmac_f64_e32 v[100:101], s[14:15], v[96:97]
	;; [unrolled: 1-line block ×3, first 2 shown]
	v_add_f64 v[96:97], v[90:91], v[102:103]
	v_fmac_f64_e32 v[86:87], -0.5, v[96:97]
	v_fma_f64 v[96:97], s[16:17], v[92:93], v[86:87]
	v_add_f64 v[90:91], v[94:95], -v[90:91]
	v_add_f64 v[94:95], v[98:99], -v[102:103]
	v_fmac_f64_e32 v[96:97], s[6:7], v[88:89]
	v_add_f64 v[90:91], v[90:91], v[94:95]
	v_fmac_f64_e32 v[86:87], s[8:9], v[92:93]
	v_add_f64 v[124:125], v[124:125], v[128:129]
	v_fmac_f64_e32 v[96:97], s[14:15], v[90:91]
	v_fmac_f64_e32 v[86:87], s[18:19], v[88:89]
	;; [unrolled: 1-line block ×4, first 2 shown]
	v_mul_f64 v[90:91], v[96:97], s[16:17]
	v_fmac_f64_e32 v[84:85], s[14:15], v[124:125]
	v_fmac_f64_e32 v[90:91], s[14:15], v[126:127]
	v_mul_f64 v[92:93], v[86:87], s[16:17]
	v_mul_f64 v[86:87], v[86:87], s[22:23]
	;; [unrolled: 1-line block ×3, first 2 shown]
	v_add_f64 v[136:137], v[30:31], v[90:91]
	v_fmac_f64_e32 v[92:93], s[22:23], v[84:85]
	v_mul_f64 v[94:95], v[116:117], s[18:19]
	v_mul_f64 v[102:103], v[118:119], s[6:7]
	v_fmac_f64_e32 v[86:87], s[8:9], v[84:85]
	v_mul_f64 v[84:85], v[116:117], s[20:21]
	v_add_f64 v[116:117], v[30:31], -v[90:91]
	s_waitcnt lgkmcnt(13)
	v_add_f64 v[30:31], v[72:73], v[76:77]
	v_add_f64 v[128:129], v[112:113], v[32:33]
	v_fmac_f64_e32 v[88:89], s[24:25], v[118:119]
	v_fmac_f64_e32 v[94:95], s[20:21], v[122:123]
	;; [unrolled: 1-line block ×3, first 2 shown]
	v_mul_f64 v[118:119], v[96:97], s[14:15]
	v_fmac_f64_e32 v[84:85], s[6:7], v[122:123]
	v_add_f64 v[96:97], v[112:113], -v[32:33]
	v_fma_f64 v[32:33], -0.5, v[30:31], v[4:5]
	s_waitcnt lgkmcnt(11)
	v_add_f64 v[30:31], v[70:71], -v[20:21]
	v_add_f64 v[132:133], v[38:39], v[88:89]
	v_add_f64 v[124:125], v[64:65], v[92:93]
	;; [unrolled: 1-line block ×5, first 2 shown]
	v_add_f64 v[100:101], v[38:39], -v[88:89]
	v_add_f64 v[88:89], v[64:65], -v[92:93]
	;; [unrolled: 1-line block ×5, first 2 shown]
	v_fma_f64 v[62:63], s[16:17], v[30:31], v[32:33]
	v_add_f64 v[38:39], v[74:75], -v[78:79]
	v_add_f64 v[40:41], v[68:69], -v[72:73]
	v_add_f64 v[64:65], v[18:19], -v[76:77]
	v_fmac_f64_e32 v[32:33], s[8:9], v[30:31]
	v_fmac_f64_e32 v[62:63], s[18:19], v[38:39]
	v_add_f64 v[40:41], v[40:41], v[64:65]
	v_fmac_f64_e32 v[32:33], s[6:7], v[38:39]
	v_fmac_f64_e32 v[62:63], s[14:15], v[40:41]
	;; [unrolled: 1-line block ×3, first 2 shown]
	v_add_f64 v[40:41], v[68:69], v[18:19]
	v_add_f64 v[16:17], v[4:5], v[68:69]
	v_fmac_f64_e32 v[4:5], -0.5, v[40:41]
	v_add_f64 v[130:131], v[114:115], v[248:249]
	v_add_f64 v[98:99], v[114:115], -v[248:249]
	v_fma_f64 v[114:115], s[8:9], v[38:39], v[4:5]
	v_fmac_f64_e32 v[4:5], s[16:17], v[38:39]
	v_fmac_f64_e32 v[114:115], s[18:19], v[30:31]
	;; [unrolled: 1-line block ×3, first 2 shown]
	v_add_f64 v[30:31], v[6:7], v[70:71]
	v_add_f64 v[40:41], v[72:73], -v[68:69]
	v_add_f64 v[64:65], v[76:77], -v[18:19]
	v_add_f64 v[30:31], v[30:31], v[74:75]
	v_add_f64 v[16:17], v[16:17], v[72:73]
	;; [unrolled: 1-line block ×5, first 2 shown]
	v_fmac_f64_e32 v[114:115], s[14:15], v[40:41]
	v_fmac_f64_e32 v[4:5], s[14:15], v[40:41]
	v_add_f64 v[40:41], v[30:31], v[20:21]
	v_add_f64 v[30:31], v[74:75], v[78:79]
	;; [unrolled: 1-line block ×3, first 2 shown]
	v_fma_f64 v[38:39], -0.5, v[30:31], v[6:7]
	v_add_f64 v[18:19], v[68:69], -v[18:19]
	v_fmac_f64_e32 v[118:119], s[8:9], v[126:127]
	v_add_f64 v[126:127], v[66:67], v[86:87]
	v_add_f64 v[90:91], v[66:67], -v[86:87]
	v_fma_f64 v[112:113], s[8:9], v[18:19], v[38:39]
	v_add_f64 v[30:31], v[72:73], -v[76:77]
	v_add_f64 v[64:65], v[70:71], -v[74:75]
	;; [unrolled: 1-line block ×3, first 2 shown]
	v_fmac_f64_e32 v[38:39], s[16:17], v[18:19]
	v_fmac_f64_e32 v[112:113], s[6:7], v[30:31]
	v_add_f64 v[64:65], v[64:65], v[66:67]
	v_fmac_f64_e32 v[38:39], s[18:19], v[30:31]
	v_fmac_f64_e32 v[112:113], s[14:15], v[64:65]
	;; [unrolled: 1-line block ×3, first 2 shown]
	v_add_f64 v[64:65], v[70:71], v[20:21]
	v_fmac_f64_e32 v[6:7], -0.5, v[64:65]
	v_fma_f64 v[248:249], s[16:17], v[30:31], v[6:7]
	v_add_f64 v[64:65], v[74:75], -v[70:71]
	v_add_f64 v[20:21], v[78:79], -v[20:21]
	v_fmac_f64_e32 v[6:7], s[8:9], v[30:31]
	v_fmac_f64_e32 v[248:249], s[6:7], v[18:19]
	v_add_f64 v[20:21], v[64:65], v[20:21]
	v_fmac_f64_e32 v[6:7], s[18:19], v[18:19]
	v_fmac_f64_e32 v[248:249], s[14:15], v[20:21]
	v_fmac_f64_e32 v[6:7], s[14:15], v[20:21]
	v_add_f64 v[20:21], v[252:253], v[26:27]
	v_fma_f64 v[20:21], -0.5, v[20:21], v[0:1]
	s_waitcnt lgkmcnt(10)
	v_add_f64 v[30:31], v[36:37], -v[24:25]
	v_fma_f64 v[66:67], s[16:17], v[30:31], v[20:21]
	v_add_f64 v[64:65], v[254:255], -v[28:29]
	v_add_f64 v[68:69], v[34:35], -v[252:253]
	;; [unrolled: 1-line block ×3, first 2 shown]
	v_fmac_f64_e32 v[20:21], s[8:9], v[30:31]
	v_fmac_f64_e32 v[66:67], s[18:19], v[64:65]
	v_add_f64 v[68:69], v[68:69], v[70:71]
	v_fmac_f64_e32 v[20:21], s[6:7], v[64:65]
	v_fmac_f64_e32 v[66:67], s[14:15], v[68:69]
	;; [unrolled: 1-line block ×3, first 2 shown]
	v_add_f64 v[68:69], v[34:35], v[22:23]
	v_add_f64 v[18:19], v[0:1], v[34:35]
	v_fmac_f64_e32 v[0:1], -0.5, v[68:69]
	v_fma_f64 v[70:71], s[8:9], v[64:65], v[0:1]
	v_fmac_f64_e32 v[0:1], s[16:17], v[64:65]
	v_fmac_f64_e32 v[70:71], s[18:19], v[30:31]
	;; [unrolled: 1-line block ×3, first 2 shown]
	v_add_f64 v[30:31], v[2:3], v[36:37]
	v_add_f64 v[30:31], v[30:31], v[254:255]
	;; [unrolled: 1-line block ×5, first 2 shown]
	v_add_f64 v[118:119], v[250:251], -v[118:119]
	v_add_f64 v[18:19], v[18:19], v[26:27]
	v_add_f64 v[68:69], v[252:253], -v[34:35]
	v_add_f64 v[72:73], v[26:27], -v[22:23]
	v_add_f64 v[250:251], v[30:31], v[24:25]
	v_add_f64 v[30:31], v[254:255], v[28:29]
	;; [unrolled: 1-line block ×4, first 2 shown]
	v_fma_f64 v[30:31], -0.5, v[30:31], v[2:3]
	v_add_f64 v[22:23], v[34:35], -v[22:23]
	v_fmac_f64_e32 v[70:71], s[14:15], v[68:69]
	v_fmac_f64_e32 v[0:1], s[14:15], v[68:69]
	v_fma_f64 v[34:35], s[8:9], v[22:23], v[30:31]
	v_add_f64 v[26:27], v[252:253], -v[26:27]
	v_add_f64 v[64:65], v[36:37], -v[254:255]
	;; [unrolled: 1-line block ×3, first 2 shown]
	v_fmac_f64_e32 v[30:31], s[16:17], v[22:23]
	v_fmac_f64_e32 v[34:35], s[6:7], v[26:27]
	v_add_f64 v[64:65], v[64:65], v[68:69]
	v_fmac_f64_e32 v[30:31], s[18:19], v[26:27]
	v_fmac_f64_e32 v[34:35], s[14:15], v[64:65]
	;; [unrolled: 1-line block ×3, first 2 shown]
	v_add_f64 v[64:65], v[36:37], v[24:25]
	v_fmac_f64_e32 v[2:3], -0.5, v[64:65]
	v_fma_f64 v[86:87], s[16:17], v[26:27], v[2:3]
	v_add_f64 v[36:37], v[254:255], -v[36:37]
	v_add_f64 v[24:25], v[28:29], -v[24:25]
	v_fmac_f64_e32 v[2:3], s[8:9], v[26:27]
	v_add_f64 v[24:25], v[36:37], v[24:25]
	v_fmac_f64_e32 v[2:3], s[18:19], v[22:23]
	v_fmac_f64_e32 v[2:3], s[14:15], v[24:25]
	;; [unrolled: 1-line block ×3, first 2 shown]
	v_mul_f64 v[36:37], v[2:3], s[16:17]
	v_mul_f64 v[254:255], v[2:3], s[22:23]
	v_fmac_f64_e32 v[86:87], s[14:15], v[24:25]
	v_fmac_f64_e32 v[36:37], s[22:23], v[0:1]
	v_mul_f64 v[252:253], v[66:67], s[6:7]
	v_fmac_f64_e32 v[254:255], s[8:9], v[0:1]
	v_mul_f64 v[0:1], v[30:31], s[20:21]
	v_mul_f64 v[22:23], v[34:35], s[18:19]
	;; [unrolled: 1-line block ×4, first 2 shown]
	v_fmac_f64_e32 v[252:253], s[24:25], v[34:35]
	v_mul_f64 v[34:35], v[86:87], s[14:15]
	v_fmac_f64_e32 v[0:1], s[6:7], v[20:21]
	v_add_f64 v[72:73], v[16:17], v[18:19]
	v_fmac_f64_e32 v[26:27], s[14:15], v[70:71]
	v_fmac_f64_e32 v[180:181], s[20:21], v[20:21]
	;; [unrolled: 1-line block ×3, first 2 shown]
	v_add_f64 v[70:71], v[38:39], v[0:1]
	v_add_f64 v[20:21], v[16:17], -v[18:19]
	v_add_f64 v[18:19], v[38:39], -v[0:1]
	s_waitcnt lgkmcnt(7)
	v_add_f64 v[0:1], v[12:13], v[54:55]
	s_waitcnt lgkmcnt(5)
	v_add_f64 v[0:1], v[0:1], v[50:51]
	;; [unrolled: 2-line block ×3, first 2 shown]
	v_fmac_f64_e32 v[22:23], s[24:25], v[66:67]
	v_add_f64 v[84:85], v[114:115], v[26:27]
	v_add_f64 v[28:29], v[114:115], -v[26:27]
	s_waitcnt lgkmcnt(1)
	v_add_f64 v[114:115], v[0:1], v[42:43]
	v_add_f64 v[0:1], v[50:51], v[46:47]
	;; [unrolled: 1-line block ×3, first 2 shown]
	v_add_f64 v[24:25], v[62:63], -v[22:23]
	v_fma_f64 v[62:63], -0.5, v[0:1], v[12:13]
	v_add_f64 v[0:1], v[56:57], -v[44:45]
	v_add_f64 v[64:65], v[4:5], v[36:37]
	v_add_f64 v[68:69], v[32:33], v[180:181]
	;; [unrolled: 1-line block ×5, first 2 shown]
	v_add_f64 v[2:3], v[4:5], -v[36:37]
	v_add_f64 v[16:17], v[32:33], -v[180:181]
	;; [unrolled: 1-line block ×5, first 2 shown]
	v_fma_f64 v[250:251], s[16:17], v[0:1], v[62:63]
	v_add_f64 v[6:7], v[52:53], -v[48:49]
	v_add_f64 v[32:33], v[54:55], -v[50:51]
	;; [unrolled: 1-line block ×3, first 2 shown]
	v_fmac_f64_e32 v[62:63], s[8:9], v[0:1]
	v_fmac_f64_e32 v[250:251], s[18:19], v[6:7]
	v_add_f64 v[32:33], v[32:33], v[34:35]
	v_fmac_f64_e32 v[62:63], s[6:7], v[6:7]
	v_fmac_f64_e32 v[250:251], s[14:15], v[32:33]
	;; [unrolled: 1-line block ×3, first 2 shown]
	v_add_f64 v[32:33], v[54:55], v[42:43]
	v_fmac_f64_e32 v[12:13], -0.5, v[32:33]
	v_add_f64 v[78:79], v[112:113], v[252:253]
	v_add_f64 v[26:27], v[112:113], -v[252:253]
	v_fma_f64 v[252:253], s[8:9], v[6:7], v[12:13]
	v_fmac_f64_e32 v[12:13], s[16:17], v[6:7]
	v_fmac_f64_e32 v[252:253], s[18:19], v[0:1]
	;; [unrolled: 1-line block ×3, first 2 shown]
	v_add_f64 v[0:1], v[14:15], v[56:57]
	v_add_f64 v[0:1], v[0:1], v[52:53]
	;; [unrolled: 1-line block ×3, first 2 shown]
	v_add_f64 v[32:33], v[50:51], -v[54:55]
	v_add_f64 v[34:35], v[46:47], -v[42:43]
	v_add_f64 v[248:249], v[0:1], v[44:45]
	v_add_f64 v[0:1], v[52:53], v[48:49]
	;; [unrolled: 1-line block ×3, first 2 shown]
	v_fma_f64 v[112:113], -0.5, v[0:1], v[14:15]
	v_add_f64 v[0:1], v[54:55], -v[42:43]
	v_fmac_f64_e32 v[252:253], s[14:15], v[32:33]
	v_fmac_f64_e32 v[12:13], s[14:15], v[32:33]
	v_fma_f64 v[54:55], s[8:9], v[0:1], v[112:113]
	v_add_f64 v[6:7], v[50:51], -v[46:47]
	v_add_f64 v[32:33], v[56:57], -v[52:53]
	v_add_f64 v[34:35], v[44:45], -v[48:49]
	v_fmac_f64_e32 v[112:113], s[16:17], v[0:1]
	v_fmac_f64_e32 v[54:55], s[6:7], v[6:7]
	v_add_f64 v[32:33], v[32:33], v[34:35]
	v_fmac_f64_e32 v[112:113], s[18:19], v[6:7]
	v_fmac_f64_e32 v[54:55], s[14:15], v[32:33]
	;; [unrolled: 1-line block ×3, first 2 shown]
	v_add_f64 v[32:33], v[56:57], v[44:45]
	v_fmac_f64_e32 v[14:15], -0.5, v[32:33]
	v_fma_f64 v[254:255], s[16:17], v[6:7], v[14:15]
	v_fmac_f64_e32 v[14:15], s[8:9], v[6:7]
	v_fmac_f64_e32 v[254:255], s[6:7], v[0:1]
	;; [unrolled: 1-line block ×3, first 2 shown]
	v_add_f64 v[0:1], v[8:9], v[108:109]
	v_add_f64 v[0:1], v[0:1], v[104:105]
	;; [unrolled: 1-line block ×3, first 2 shown]
	v_add_f64 v[32:33], v[52:53], -v[56:57]
	v_add_f64 v[34:35], v[48:49], -v[44:45]
	s_waitcnt lgkmcnt(0)
	v_add_f64 v[52:53], v[0:1], v[58:59]
	v_add_f64 v[0:1], v[104:105], v[80:81]
	;; [unrolled: 1-line block ×3, first 2 shown]
	v_fma_f64 v[46:47], -0.5, v[0:1], v[8:9]
	v_add_f64 v[0:1], v[110:111], -v[60:61]
	v_fmac_f64_e32 v[254:255], s[14:15], v[32:33]
	v_fmac_f64_e32 v[14:15], s[14:15], v[32:33]
	v_fma_f64 v[6:7], s[16:17], v[0:1], v[46:47]
	v_add_f64 v[32:33], v[106:107], -v[82:83]
	v_add_f64 v[34:35], v[108:109], -v[104:105]
	;; [unrolled: 1-line block ×3, first 2 shown]
	v_fmac_f64_e32 v[46:47], s[8:9], v[0:1]
	v_fmac_f64_e32 v[6:7], s[18:19], v[32:33]
	v_add_f64 v[34:35], v[34:35], v[36:37]
	v_fmac_f64_e32 v[46:47], s[6:7], v[32:33]
	v_fmac_f64_e32 v[6:7], s[14:15], v[34:35]
	v_fmac_f64_e32 v[46:47], s[14:15], v[34:35]
	v_add_f64 v[34:35], v[108:109], v[58:59]
	v_fmac_f64_e32 v[8:9], -0.5, v[34:35]
	v_fma_f64 v[34:35], s[8:9], v[32:33], v[8:9]
	v_add_f64 v[36:37], v[104:105], -v[108:109]
	v_add_f64 v[38:39], v[80:81], -v[58:59]
	v_fmac_f64_e32 v[8:9], s[16:17], v[32:33]
	v_add_f64 v[32:33], v[106:107], v[82:83]
	v_fmac_f64_e32 v[34:35], s[18:19], v[0:1]
	v_add_f64 v[36:37], v[36:37], v[38:39]
	v_fmac_f64_e32 v[8:9], s[6:7], v[0:1]
	v_fma_f64 v[56:57], -0.5, v[32:33], v[10:11]
	v_add_f64 v[32:33], v[108:109], -v[58:59]
	v_fmac_f64_e32 v[34:35], s[14:15], v[36:37]
	v_fmac_f64_e32 v[8:9], s[14:15], v[36:37]
	v_fma_f64 v[38:39], s[8:9], v[32:33], v[56:57]
	v_add_f64 v[36:37], v[104:105], -v[80:81]
	v_add_f64 v[40:41], v[110:111], -v[106:107]
	;; [unrolled: 1-line block ×3, first 2 shown]
	v_fmac_f64_e32 v[56:57], s[16:17], v[32:33]
	v_fmac_f64_e32 v[38:39], s[6:7], v[36:37]
	v_add_f64 v[40:41], v[40:41], v[42:43]
	v_fmac_f64_e32 v[56:57], s[18:19], v[36:37]
	v_fmac_f64_e32 v[38:39], s[14:15], v[40:41]
	;; [unrolled: 1-line block ×3, first 2 shown]
	v_add_f64 v[40:41], v[110:111], v[60:61]
	v_add_f64 v[0:1], v[10:11], v[110:111]
	v_fmac_f64_e32 v[10:11], -0.5, v[40:41]
	v_fma_f64 v[50:51], s[16:17], v[36:37], v[10:11]
	v_add_f64 v[40:41], v[106:107], -v[110:111]
	v_add_f64 v[42:43], v[82:83], -v[60:61]
	v_fmac_f64_e32 v[10:11], s[8:9], v[36:37]
	v_add_f64 v[0:1], v[0:1], v[106:107]
	v_fmac_f64_e32 v[50:51], s[6:7], v[32:33]
	v_add_f64 v[40:41], v[40:41], v[42:43]
	;; [unrolled: 2-line block ×3, first 2 shown]
	v_fmac_f64_e32 v[50:51], s[14:15], v[40:41]
	v_fmac_f64_e32 v[10:11], s[14:15], v[40:41]
	v_mul_f64 v[58:59], v[38:39], s[18:19]
	v_add_f64 v[0:1], v[0:1], v[60:61]
	v_fmac_f64_e32 v[58:59], s[24:25], v[6:7]
	v_mul_f64 v[60:61], v[50:51], s[16:17]
	v_mul_f64 v[80:81], v[10:11], s[16:17]
	;; [unrolled: 1-line block ×7, first 2 shown]
	v_fmac_f64_e32 v[60:61], s[14:15], v[34:35]
	v_fmac_f64_e32 v[80:81], s[22:23], v[8:9]
	;; [unrolled: 1-line block ×7, first 2 shown]
	v_add_f64 v[40:41], v[114:115], v[52:53]
	v_add_f64 v[36:37], v[250:251], v[58:59]
	;; [unrolled: 1-line block ×10, first 2 shown]
	v_add_f64 v[56:57], v[114:115], -v[52:53]
	v_add_f64 v[52:53], v[250:251], -v[58:59]
	;; [unrolled: 1-line block ×10, first 2 shown]
	s_barrier
	ds_write_b128 v246, v[128:131]
	ds_write_b128 v246, v[132:135] offset:16
	ds_write_b128 v246, v[136:139] offset:32
	ds_write_b128 v246, v[124:127] offset:48
	ds_write_b128 v246, v[120:123] offset:64
	ds_write_b128 v246, v[96:99] offset:80
	ds_write_b128 v246, v[100:103] offset:96
	ds_write_b128 v246, v[116:119] offset:112
	ds_write_b128 v246, v[88:91] offset:128
	ds_write_b128 v246, v[92:95] offset:144
	ds_write_b128 v182, v[72:75]
	ds_write_b128 v182, v[76:79] offset:16
	ds_write_b128 v182, v[84:87] offset:32
	ds_write_b128 v182, v[64:67] offset:48
	ds_write_b128 v182, v[68:71] offset:64
	ds_write_b128 v182, v[20:23] offset:80
	ds_write_b128 v182, v[24:27] offset:96
	ds_write_b128 v182, v[28:31] offset:112
	ds_write_b128 v182, v[2:5] offset:128
	ds_write_b128 v182, v[16:19] offset:144
	;; [unrolled: 10-line block ×3, first 2 shown]
	s_waitcnt lgkmcnt(0)
	s_barrier
	ds_read_b128 v[36:39], v177
	ds_read_b128 v[116:119], v177 offset:12960
	ds_read_b128 v[112:115], v177 offset:25920
	;; [unrolled: 1-line block ×29, first 2 shown]
	buffer_load_dword v122, off, s[36:39], 0 offset:608 ; 4-byte Folded Reload
	buffer_load_dword v123, off, s[36:39], 0 offset:612 ; 4-byte Folded Reload
	;; [unrolled: 1-line block ×4, first 2 shown]
	s_waitcnt vmcnt(0) lgkmcnt(14)
	v_mul_f64 v[120:121], v[124:125], v[118:119]
	v_fmac_f64_e32 v[120:121], v[122:123], v[116:117]
	v_mul_f64 v[116:117], v[124:125], v[116:117]
	v_fma_f64 v[122:123], v[122:123], v[118:119], -v[116:117]
	buffer_load_dword v116, off, s[36:39], 0 offset:592 ; 4-byte Folded Reload
	buffer_load_dword v117, off, s[36:39], 0 offset:596 ; 4-byte Folded Reload
	buffer_load_dword v118, off, s[36:39], 0 offset:600 ; 4-byte Folded Reload
	buffer_load_dword v119, off, s[36:39], 0 offset:604 ; 4-byte Folded Reload
	s_waitcnt vmcnt(0)
	v_mul_f64 v[124:125], v[118:119], v[114:115]
	v_fmac_f64_e32 v[124:125], v[116:117], v[112:113]
	v_mul_f64 v[112:113], v[118:119], v[112:113]
	v_fma_f64 v[112:113], v[116:117], v[114:115], -v[112:113]
	buffer_load_dword v114, off, s[36:39], 0 offset:640 ; 4-byte Folded Reload
	buffer_load_dword v115, off, s[36:39], 0 offset:644 ; 4-byte Folded Reload
	buffer_load_dword v116, off, s[36:39], 0 offset:648 ; 4-byte Folded Reload
	buffer_load_dword v117, off, s[36:39], 0 offset:652 ; 4-byte Folded Reload
	s_waitcnt vmcnt(0)
	;; [unrolled: 9-line block ×9, first 2 shown]
	v_mul_f64 v[250:251], v[86:87], v[82:83]
	v_fmac_f64_e32 v[250:251], v[84:85], v[80:81]
	v_mul_f64 v[80:81], v[86:87], v[80:81]
	v_fma_f64 v[82:83], v[84:85], v[82:83], -v[80:81]
	buffer_load_dword v84, off, s[36:39], 0 offset:752 ; 4-byte Folded Reload
	buffer_load_dword v85, off, s[36:39], 0 offset:756 ; 4-byte Folded Reload
	;; [unrolled: 1-line block ×4, first 2 shown]
	s_waitcnt vmcnt(0) lgkmcnt(13)
	v_mul_f64 v[252:253], v[86:87], v[78:79]
	v_fmac_f64_e32 v[252:253], v[84:85], v[76:77]
	v_mul_f64 v[76:77], v[86:87], v[76:77]
	v_fma_f64 v[254:255], v[84:85], v[78:79], -v[76:77]
	buffer_load_dword v78, off, s[36:39], 0 offset:768 ; 4-byte Folded Reload
	buffer_load_dword v79, off, s[36:39], 0 offset:772 ; 4-byte Folded Reload
	;; [unrolled: 1-line block ×8, first 2 shown]
	s_waitcnt vmcnt(4) lgkmcnt(12)
	v_mul_f64 v[76:77], v[80:81], v[74:75]
	v_fmac_f64_e32 v[76:77], v[78:79], v[72:73]
	v_mul_f64 v[72:73], v[80:81], v[72:73]
	v_fma_f64 v[74:75], v[78:79], v[74:75], -v[72:73]
	s_waitcnt vmcnt(0) lgkmcnt(10)
	v_mul_f64 v[78:79], v[86:87], v[70:71]
	v_fmac_f64_e32 v[78:79], v[84:85], v[68:69]
	v_mul_f64 v[68:69], v[86:87], v[68:69]
	v_fma_f64 v[68:69], v[84:85], v[70:71], -v[68:69]
	buffer_load_dword v84, off, s[36:39], 0 offset:800 ; 4-byte Folded Reload
	buffer_load_dword v85, off, s[36:39], 0 offset:804 ; 4-byte Folded Reload
	;; [unrolled: 1-line block ×4, first 2 shown]
	s_waitcnt lgkmcnt(0)
	s_barrier
	s_waitcnt vmcnt(0)
	v_mul_f64 v[70:71], v[86:87], v[66:67]
	v_fmac_f64_e32 v[70:71], v[84:85], v[64:65]
	v_mul_f64 v[64:65], v[86:87], v[64:65]
	v_fma_f64 v[66:67], v[84:85], v[66:67], -v[64:65]
	v_accvgpr_read_b32 v84, a208
	v_accvgpr_read_b32 v86, a210
	v_accvgpr_read_b32 v87, a211
	v_accvgpr_read_b32 v85, a209
	v_mul_f64 v[64:65], v[86:87], v[62:63]
	v_fmac_f64_e32 v[64:65], v[84:85], v[60:61]
	v_mul_f64 v[60:61], v[86:87], v[60:61]
	v_fma_f64 v[60:61], v[84:85], v[62:63], -v[60:61]
	v_accvgpr_read_b32 v84, a184
	v_accvgpr_read_b32 v86, a186
	v_accvgpr_read_b32 v87, a187
	v_accvgpr_read_b32 v85, a185
	;; [unrolled: 8-line block ×6, first 2 shown]
	v_mul_f64 v[46:47], v[86:87], v[42:43]
	v_fmac_f64_e32 v[46:47], v[84:85], v[40:41]
	v_mul_f64 v[40:41], v[86:87], v[40:41]
	v_fma_f64 v[42:43], v[84:85], v[42:43], -v[40:41]
	v_add_f64 v[40:41], v[36:37], v[120:121]
	v_add_f64 v[116:117], v[40:41], v[124:125]
	v_add_f64 v[40:41], v[120:121], v[124:125]
	v_fmac_f64_e32 v[36:37], -0.5, v[40:41]
	v_add_f64 v[40:41], v[122:123], -v[112:113]
	v_fma_f64 v[108:109], s[4:5], v[40:41], v[36:37]
	v_fmac_f64_e32 v[36:37], s[2:3], v[40:41]
	v_add_f64 v[40:41], v[38:39], v[122:123]
	v_add_f64 v[118:119], v[40:41], v[112:113]
	v_add_f64 v[40:41], v[122:123], v[112:113]
	v_fmac_f64_e32 v[38:39], -0.5, v[40:41]
	v_add_f64 v[40:41], v[120:121], -v[124:125]
	v_fma_f64 v[110:111], s[2:3], v[40:41], v[38:39]
	v_fmac_f64_e32 v[38:39], s[4:5], v[40:41]
	;; [unrolled: 7-line block ×20, first 2 shown]
	buffer_load_dword v44, off, s[36:39], 0 offset:4 ; 4-byte Folded Reload
	s_waitcnt vmcnt(0)
	ds_write_b128 v44, v[116:119]
	ds_write_b128 v44, v[108:111] offset:160
	ds_write_b128 v44, v[36:39] offset:320
	buffer_load_dword v36, off, s[36:39], 0 offset:8 ; 4-byte Folded Reload
	s_waitcnt vmcnt(0)
	ds_write_b128 v36, v[112:115]
	ds_write_b128 v36, v[104:107] offset:160
	ds_write_b128 v36, v[32:35] offset:320
	;; [unrolled: 5-line block ×9, first 2 shown]
	buffer_load_dword v4, off, s[36:39], 0 offset:164 ; 4-byte Folded Reload
	v_accvgpr_read_b32 v122, a212
	v_accvgpr_read_b32 v124, a214
	;; [unrolled: 1-line block ×3, first 2 shown]
	s_waitcnt vmcnt(0)
	ds_write_b128 v4, v[50:53]
	ds_write_b128 v4, v[40:43] offset:160
	ds_write_b128 v4, v[0:3] offset:320
	s_waitcnt lgkmcnt(0)
	s_barrier
	ds_read_b128 v[36:39], v177
	ds_read_b128 v[116:119], v177 offset:12960
	ds_read_b128 v[112:115], v177 offset:25920
	;; [unrolled: 1-line block ×29, first 2 shown]
	v_accvgpr_read_b32 v123, a213
	s_waitcnt lgkmcnt(14)
	v_mul_f64 v[120:121], v[124:125], v[118:119]
	v_fmac_f64_e32 v[120:121], v[122:123], v[116:117]
	v_mul_f64 v[116:117], v[124:125], v[116:117]
	v_fma_f64 v[122:123], v[122:123], v[118:119], -v[116:117]
	v_accvgpr_read_b32 v116, a218
	v_accvgpr_read_b32 v118, a220
	v_accvgpr_read_b32 v119, a221
	v_accvgpr_read_b32 v117, a219
	v_mul_f64 v[124:125], v[118:119], v[114:115]
	v_fmac_f64_e32 v[124:125], v[116:117], v[112:113]
	v_mul_f64 v[112:113], v[118:119], v[112:113]
	v_fma_f64 v[112:113], v[116:117], v[114:115], -v[112:113]
	v_accvgpr_read_b32 v114, a222
	v_accvgpr_read_b32 v116, a224
	v_accvgpr_read_b32 v117, a225
	v_accvgpr_read_b32 v115, a223
	;; [unrolled: 8-line block ×10, first 2 shown]
	s_waitcnt lgkmcnt(13)
	v_mul_f64 v[252:253], v[86:87], v[78:79]
	v_fmac_f64_e32 v[252:253], v[84:85], v[76:77]
	v_mul_f64 v[76:77], v[86:87], v[76:77]
	v_fma_f64 v[254:255], v[84:85], v[78:79], -v[76:77]
	v_accvgpr_read_b32 v78, a180
	v_accvgpr_read_b32 v80, a182
	v_accvgpr_read_b32 v81, a183
	v_accvgpr_read_b32 v79, a181
	s_waitcnt lgkmcnt(12)
	v_mul_f64 v[76:77], v[80:81], v[74:75]
	v_accvgpr_read_b32 v84, a176
	v_fmac_f64_e32 v[76:77], v[78:79], v[72:73]
	v_mul_f64 v[72:73], v[80:81], v[72:73]
	v_accvgpr_read_b32 v86, a178
	v_accvgpr_read_b32 v87, a179
	v_fma_f64 v[74:75], v[78:79], v[74:75], -v[72:73]
	v_accvgpr_read_b32 v85, a177
	s_waitcnt lgkmcnt(10)
	v_mul_f64 v[78:79], v[86:87], v[70:71]
	v_fmac_f64_e32 v[78:79], v[84:85], v[68:69]
	v_mul_f64 v[68:69], v[86:87], v[68:69]
	v_fma_f64 v[68:69], v[84:85], v[70:71], -v[68:69]
	v_accvgpr_read_b32 v84, a172
	v_accvgpr_read_b32 v86, a174
	v_accvgpr_read_b32 v87, a175
	v_accvgpr_read_b32 v85, a173
	s_waitcnt lgkmcnt(9)
	v_mul_f64 v[70:71], v[86:87], v[66:67]
	v_fmac_f64_e32 v[70:71], v[84:85], v[64:65]
	v_mul_f64 v[64:65], v[86:87], v[64:65]
	v_fma_f64 v[66:67], v[84:85], v[66:67], -v[64:65]
	v_accvgpr_read_b32 v84, a168
	v_accvgpr_read_b32 v86, a170
	v_accvgpr_read_b32 v87, a171
	;; [unrolled: 9-line block ×7, first 2 shown]
	v_accvgpr_read_b32 v85, a149
	s_waitcnt lgkmcnt(0)
	v_mul_f64 v[46:47], v[86:87], v[42:43]
	v_fmac_f64_e32 v[46:47], v[84:85], v[40:41]
	v_mul_f64 v[40:41], v[86:87], v[40:41]
	v_fma_f64 v[42:43], v[84:85], v[42:43], -v[40:41]
	v_add_f64 v[40:41], v[36:37], v[120:121]
	v_add_f64 v[116:117], v[40:41], v[124:125]
	v_add_f64 v[40:41], v[120:121], v[124:125]
	v_fmac_f64_e32 v[36:37], -0.5, v[40:41]
	v_add_f64 v[40:41], v[122:123], -v[112:113]
	v_fma_f64 v[108:109], s[4:5], v[40:41], v[36:37]
	v_fmac_f64_e32 v[36:37], s[2:3], v[40:41]
	v_add_f64 v[40:41], v[38:39], v[122:123]
	v_add_f64 v[118:119], v[40:41], v[112:113]
	v_add_f64 v[40:41], v[122:123], v[112:113]
	v_fmac_f64_e32 v[38:39], -0.5, v[40:41]
	v_add_f64 v[40:41], v[120:121], -v[124:125]
	v_fma_f64 v[110:111], s[2:3], v[40:41], v[38:39]
	v_fmac_f64_e32 v[38:39], s[4:5], v[40:41]
	;; [unrolled: 7-line block ×20, first 2 shown]
	s_barrier
	buffer_load_dword v44, off, s[36:39], 0 offset:172 ; 4-byte Folded Reload
	s_waitcnt vmcnt(0)
	ds_write_b128 v44, v[116:119]
	ds_write_b128 v44, v[108:111] offset:480
	ds_write_b128 v44, v[36:39] offset:960
	buffer_load_dword v36, off, s[36:39], 0 offset:176 ; 4-byte Folded Reload
	s_waitcnt vmcnt(0)
	ds_write_b128 v36, v[112:115]
	ds_write_b128 v36, v[104:107] offset:480
	ds_write_b128 v36, v[32:35] offset:960
	;; [unrolled: 5-line block ×9, first 2 shown]
	buffer_load_dword v4, off, s[36:39], 0 offset:528 ; 4-byte Folded Reload
	v_accvgpr_read_b32 v122, a144
	v_accvgpr_read_b32 v124, a146
	;; [unrolled: 1-line block ×3, first 2 shown]
	s_waitcnt vmcnt(0)
	ds_write_b128 v4, v[50:53]
	ds_write_b128 v4, v[40:43] offset:480
	ds_write_b128 v4, v[0:3] offset:960
	s_waitcnt lgkmcnt(0)
	s_barrier
	ds_read_b128 v[36:39], v177
	ds_read_b128 v[116:119], v177 offset:12960
	ds_read_b128 v[112:115], v177 offset:25920
	;; [unrolled: 1-line block ×29, first 2 shown]
	v_accvgpr_read_b32 v123, a145
	s_waitcnt lgkmcnt(14)
	v_mul_f64 v[120:121], v[124:125], v[118:119]
	v_fmac_f64_e32 v[120:121], v[122:123], v[116:117]
	v_mul_f64 v[116:117], v[124:125], v[116:117]
	v_fma_f64 v[122:123], v[122:123], v[118:119], -v[116:117]
	v_accvgpr_read_b32 v116, a140
	v_accvgpr_read_b32 v118, a142
	v_accvgpr_read_b32 v119, a143
	v_accvgpr_read_b32 v117, a141
	v_mul_f64 v[124:125], v[118:119], v[114:115]
	v_fmac_f64_e32 v[124:125], v[116:117], v[112:113]
	v_mul_f64 v[112:113], v[118:119], v[112:113]
	v_fma_f64 v[112:113], v[116:117], v[114:115], -v[112:113]
	v_accvgpr_read_b32 v114, a136
	v_accvgpr_read_b32 v116, a138
	v_accvgpr_read_b32 v117, a139
	v_accvgpr_read_b32 v115, a137
	;; [unrolled: 8-line block ×10, first 2 shown]
	s_waitcnt lgkmcnt(13)
	v_mul_f64 v[252:253], v[86:87], v[78:79]
	v_fmac_f64_e32 v[252:253], v[84:85], v[76:77]
	v_mul_f64 v[76:77], v[86:87], v[76:77]
	v_fma_f64 v[254:255], v[84:85], v[78:79], -v[76:77]
	v_accvgpr_read_b32 v78, a100
	v_accvgpr_read_b32 v80, a102
	;; [unrolled: 1-line block ×4, first 2 shown]
	s_waitcnt lgkmcnt(12)
	v_mul_f64 v[76:77], v[80:81], v[74:75]
	v_accvgpr_read_b32 v84, a96
	v_fmac_f64_e32 v[76:77], v[78:79], v[72:73]
	v_mul_f64 v[72:73], v[80:81], v[72:73]
	v_accvgpr_read_b32 v86, a98
	v_accvgpr_read_b32 v87, a99
	v_fma_f64 v[74:75], v[78:79], v[74:75], -v[72:73]
	v_accvgpr_read_b32 v85, a97
	s_waitcnt lgkmcnt(10)
	v_mul_f64 v[78:79], v[86:87], v[70:71]
	v_fmac_f64_e32 v[78:79], v[84:85], v[68:69]
	v_mul_f64 v[68:69], v[86:87], v[68:69]
	v_fma_f64 v[68:69], v[84:85], v[70:71], -v[68:69]
	v_accvgpr_read_b32 v84, a92
	v_accvgpr_read_b32 v86, a94
	v_accvgpr_read_b32 v87, a95
	v_accvgpr_read_b32 v85, a93
	s_waitcnt lgkmcnt(9)
	v_mul_f64 v[70:71], v[86:87], v[66:67]
	v_fmac_f64_e32 v[70:71], v[84:85], v[64:65]
	v_mul_f64 v[64:65], v[86:87], v[64:65]
	v_fma_f64 v[66:67], v[84:85], v[66:67], -v[64:65]
	v_accvgpr_read_b32 v84, a88
	v_accvgpr_read_b32 v86, a90
	v_accvgpr_read_b32 v87, a91
	;; [unrolled: 9-line block ×7, first 2 shown]
	v_accvgpr_read_b32 v84, a68
	s_waitcnt lgkmcnt(0)
	v_mul_f64 v[46:47], v[86:87], v[42:43]
	v_fmac_f64_e32 v[46:47], v[84:85], v[40:41]
	v_mul_f64 v[40:41], v[86:87], v[40:41]
	v_fma_f64 v[42:43], v[84:85], v[42:43], -v[40:41]
	v_add_f64 v[40:41], v[36:37], v[120:121]
	v_add_f64 v[116:117], v[40:41], v[124:125]
	;; [unrolled: 1-line block ×3, first 2 shown]
	v_fmac_f64_e32 v[36:37], -0.5, v[40:41]
	v_add_f64 v[40:41], v[122:123], -v[112:113]
	v_fma_f64 v[108:109], s[4:5], v[40:41], v[36:37]
	v_fmac_f64_e32 v[36:37], s[2:3], v[40:41]
	v_add_f64 v[40:41], v[38:39], v[122:123]
	v_add_f64 v[118:119], v[40:41], v[112:113]
	;; [unrolled: 1-line block ×3, first 2 shown]
	v_fmac_f64_e32 v[38:39], -0.5, v[40:41]
	v_add_f64 v[40:41], v[120:121], -v[124:125]
	v_fma_f64 v[110:111], s[2:3], v[40:41], v[38:39]
	v_fmac_f64_e32 v[38:39], s[4:5], v[40:41]
	s_barrier
	ds_write_b128 v177, v[116:119]
	ds_write_b128 v177, v[108:111] offset:1440
	ds_write_b128 v177, v[36:39] offset:2880
	buffer_load_dword v36, off, s[36:39], 0 offset:532 ; 4-byte Folded Reload
	v_add_f64 v[40:41], v[32:33], v[126:127]
	v_add_f64 v[112:113], v[40:41], v[130:131]
	v_add_f64 v[40:41], v[126:127], v[130:131]
	v_fmac_f64_e32 v[32:33], -0.5, v[40:41]
	v_add_f64 v[40:41], v[128:129], -v[106:107]
	v_fma_f64 v[104:105], s[4:5], v[40:41], v[32:33]
	v_fmac_f64_e32 v[32:33], s[2:3], v[40:41]
	v_add_f64 v[40:41], v[34:35], v[128:129]
	v_add_f64 v[114:115], v[40:41], v[106:107]
	v_add_f64 v[40:41], v[128:129], v[106:107]
	v_fmac_f64_e32 v[34:35], -0.5, v[40:41]
	v_add_f64 v[40:41], v[126:127], -v[130:131]
	v_fma_f64 v[106:107], s[2:3], v[40:41], v[34:35]
	v_fmac_f64_e32 v[34:35], s[4:5], v[40:41]
	s_waitcnt vmcnt(0)
	ds_write_b128 v36, v[112:115]
	ds_write_b128 v36, v[104:107] offset:1440
	ds_write_b128 v36, v[32:35] offset:2880
	buffer_load_dword v32, off, s[36:39], 0 offset:536 ; 4-byte Folded Reload
	v_add_f64 v[40:41], v[28:29], v[132:133]
	v_add_f64 v[100:101], v[40:41], v[136:137]
	v_add_f64 v[40:41], v[132:133], v[136:137]
	v_fmac_f64_e32 v[28:29], -0.5, v[40:41]
	v_add_f64 v[40:41], v[134:135], -v[98:99]
	v_fma_f64 v[96:97], s[4:5], v[40:41], v[28:29]
	v_fmac_f64_e32 v[28:29], s[2:3], v[40:41]
	v_add_f64 v[40:41], v[30:31], v[134:135]
	v_add_f64 v[102:103], v[40:41], v[98:99]
	v_add_f64 v[40:41], v[134:135], v[98:99]
	v_fmac_f64_e32 v[30:31], -0.5, v[40:41]
	v_add_f64 v[40:41], v[132:133], -v[136:137]
	v_fma_f64 v[98:99], s[2:3], v[40:41], v[30:31]
	v_fmac_f64_e32 v[30:31], s[4:5], v[40:41]
	s_waitcnt vmcnt(0)
	;; [unrolled: 19-line block ×8, first 2 shown]
	ds_write_b128 v8, v[58:61]
	ds_write_b128 v8, v[62:65] offset:1440
	ds_write_b128 v8, v[4:7] offset:2880
	buffer_load_dword v4, off, s[36:39], 0 offset:556 ; 4-byte Folded Reload
	v_add_f64 v[40:41], v[0:1], v[48:49]
	v_add_f64 v[50:51], v[40:41], v[46:47]
	;; [unrolled: 1-line block ×3, first 2 shown]
	v_fmac_f64_e32 v[0:1], -0.5, v[40:41]
	v_add_f64 v[52:53], v[44:45], -v[42:43]
	v_fma_f64 v[40:41], s[4:5], v[52:53], v[0:1]
	v_fmac_f64_e32 v[0:1], s[2:3], v[52:53]
	v_add_f64 v[52:53], v[2:3], v[44:45]
	v_add_f64 v[52:53], v[52:53], v[42:43]
	;; [unrolled: 1-line block ×3, first 2 shown]
	v_fmac_f64_e32 v[2:3], -0.5, v[42:43]
	v_add_f64 v[44:45], v[48:49], -v[46:47]
	v_accvgpr_read_b32 v125, a67
	v_fma_f64 v[42:43], s[2:3], v[44:45], v[2:3]
	v_fmac_f64_e32 v[2:3], s[4:5], v[44:45]
	v_accvgpr_read_b32 v124, a66
	s_waitcnt vmcnt(0)
	ds_write_b128 v4, v[50:53] offset:34560
	ds_write_b128 v4, v[40:43] offset:36000
	;; [unrolled: 1-line block ×3, first 2 shown]
	s_waitcnt lgkmcnt(0)
	s_barrier
	ds_read_b128 v[36:39], v177
	ds_read_b128 v[116:119], v177 offset:12960
	ds_read_b128 v[112:115], v177 offset:25920
	;; [unrolled: 1-line block ×29, first 2 shown]
	v_accvgpr_read_b32 v123, a65
	v_accvgpr_read_b32 v122, a64
	s_waitcnt lgkmcnt(14)
	v_mul_f64 v[120:121], v[124:125], v[118:119]
	v_fmac_f64_e32 v[120:121], v[122:123], v[116:117]
	v_mul_f64 v[116:117], v[124:125], v[116:117]
	v_fma_f64 v[122:123], v[122:123], v[118:119], -v[116:117]
	v_accvgpr_read_b32 v119, a63
	v_accvgpr_read_b32 v118, a62
	v_accvgpr_read_b32 v117, a61
	v_accvgpr_read_b32 v116, a60
	v_mul_f64 v[124:125], v[118:119], v[114:115]
	v_fmac_f64_e32 v[124:125], v[116:117], v[112:113]
	v_mul_f64 v[112:113], v[118:119], v[112:113]
	v_fma_f64 v[112:113], v[116:117], v[114:115], -v[112:113]
	v_accvgpr_read_b32 v117, a59
	v_accvgpr_read_b32 v116, a58
	v_accvgpr_read_b32 v115, a57
	v_accvgpr_read_b32 v114, a56
	v_mul_f64 v[126:127], v[116:117], v[110:111]
	v_fmac_f64_e32 v[126:127], v[114:115], v[108:109]
	v_mul_f64 v[108:109], v[116:117], v[108:109]
	v_fma_f64 v[128:129], v[114:115], v[110:111], -v[108:109]
	v_accvgpr_read_b32 v111, a55
	v_accvgpr_read_b32 v110, a54
	v_accvgpr_read_b32 v109, a53
	v_accvgpr_read_b32 v108, a52
	v_mul_f64 v[130:131], v[110:111], v[106:107]
	v_fmac_f64_e32 v[130:131], v[108:109], v[104:105]
	v_mul_f64 v[104:105], v[110:111], v[104:105]
	v_fma_f64 v[106:107], v[108:109], v[106:107], -v[104:105]
	v_accvgpr_read_b32 v111, a51
	v_accvgpr_read_b32 v110, a50
	v_accvgpr_read_b32 v109, a49
	v_accvgpr_read_b32 v108, a48
	v_mul_f64 v[132:133], v[110:111], v[102:103]
	v_fmac_f64_e32 v[132:133], v[108:109], v[100:101]
	v_mul_f64 v[100:101], v[110:111], v[100:101]
	v_fma_f64 v[134:135], v[108:109], v[102:103], -v[100:101]
	v_accvgpr_read_b32 v103, a47
	v_accvgpr_read_b32 v102, a46
	v_accvgpr_read_b32 v101, a45
	v_accvgpr_read_b32 v100, a44
	v_mul_f64 v[136:137], v[102:103], v[98:99]
	v_fmac_f64_e32 v[136:137], v[100:101], v[96:97]
	v_mul_f64 v[96:97], v[102:103], v[96:97]
	v_fma_f64 v[98:99], v[100:101], v[98:99], -v[96:97]
	v_accvgpr_read_b32 v103, a41
	v_accvgpr_read_b32 v102, a40
	v_accvgpr_read_b32 v101, a39
	v_accvgpr_read_b32 v100, a38
	v_mul_f64 v[138:139], v[102:103], v[94:95]
	v_fmac_f64_e32 v[138:139], v[100:101], v[92:93]
	v_mul_f64 v[92:93], v[102:103], v[92:93]
	v_fma_f64 v[180:181], v[100:101], v[94:95], -v[92:93]
	v_accvgpr_read_b32 v95, a31
	v_accvgpr_read_b32 v94, a30
	v_accvgpr_read_b32 v93, a29
	v_accvgpr_read_b32 v92, a28
	v_mul_f64 v[182:183], v[94:95], v[90:91]
	v_fmac_f64_e32 v[182:183], v[92:93], v[88:89]
	v_mul_f64 v[88:89], v[94:95], v[88:89]
	v_fma_f64 v[90:91], v[92:93], v[90:91], -v[88:89]
	v_accvgpr_read_b32 v95, a27
	v_accvgpr_read_b32 v94, a26
	v_accvgpr_read_b32 v93, a25
	v_accvgpr_read_b32 v92, a24
	v_mul_f64 v[184:185], v[94:95], v[86:87]
	v_fmac_f64_e32 v[184:185], v[92:93], v[84:85]
	v_mul_f64 v[84:85], v[94:95], v[84:85]
	v_fma_f64 v[248:249], v[92:93], v[86:87], -v[84:85]
	v_accvgpr_read_b32 v87, a23
	v_accvgpr_read_b32 v86, a22
	v_accvgpr_read_b32 v85, a21
	v_accvgpr_read_b32 v84, a20
	v_mul_f64 v[250:251], v[86:87], v[82:83]
	v_fmac_f64_e32 v[250:251], v[84:85], v[80:81]
	v_mul_f64 v[80:81], v[86:87], v[80:81]
	v_fma_f64 v[82:83], v[84:85], v[82:83], -v[80:81]
	v_accvgpr_read_b32 v87, a19
	v_accvgpr_read_b32 v86, a18
	v_accvgpr_read_b32 v85, a17
	v_accvgpr_read_b32 v84, a16
	s_waitcnt lgkmcnt(13)
	v_mul_f64 v[252:253], v[86:87], v[78:79]
	v_fmac_f64_e32 v[252:253], v[84:85], v[76:77]
	v_mul_f64 v[76:77], v[86:87], v[76:77]
	v_fma_f64 v[254:255], v[84:85], v[78:79], -v[76:77]
	v_accvgpr_read_b32 v81, a15
	v_accvgpr_read_b32 v80, a14
	;; [unrolled: 1-line block ×4, first 2 shown]
	s_waitcnt lgkmcnt(12)
	v_mul_f64 v[76:77], v[80:81], v[74:75]
	v_accvgpr_read_b32 v87, a11
	v_fmac_f64_e32 v[76:77], v[78:79], v[72:73]
	v_mul_f64 v[72:73], v[80:81], v[72:73]
	v_accvgpr_read_b32 v86, a10
	v_fma_f64 v[74:75], v[78:79], v[74:75], -v[72:73]
	v_accvgpr_read_b32 v85, a9
	v_accvgpr_read_b32 v84, a8
	s_waitcnt lgkmcnt(10)
	v_mul_f64 v[78:79], v[86:87], v[70:71]
	v_fmac_f64_e32 v[78:79], v[84:85], v[68:69]
	v_mul_f64 v[68:69], v[86:87], v[68:69]
	v_fma_f64 v[68:69], v[84:85], v[70:71], -v[68:69]
	v_accvgpr_read_b32 v87, a7
	v_accvgpr_read_b32 v86, a6
	v_accvgpr_read_b32 v85, a5
	v_accvgpr_read_b32 v84, a4
	s_waitcnt lgkmcnt(9)
	v_mul_f64 v[70:71], v[86:87], v[66:67]
	v_fmac_f64_e32 v[70:71], v[84:85], v[64:65]
	v_mul_f64 v[64:65], v[86:87], v[64:65]
	v_fma_f64 v[66:67], v[84:85], v[66:67], -v[64:65]
	v_accvgpr_read_b32 v87, a35
	v_accvgpr_read_b32 v86, a34
	;; [unrolled: 9-line block ×3, first 2 shown]
	v_accvgpr_read_b32 v85, a1
	v_accvgpr_read_b32 v84, a0
	s_waitcnt lgkmcnt(6)
	v_mul_f64 v[62:63], v[86:87], v[58:59]
	v_fmac_f64_e32 v[62:63], v[84:85], v[56:57]
	v_mul_f64 v[56:57], v[86:87], v[56:57]
	v_fma_f64 v[58:59], v[84:85], v[58:59], -v[56:57]
	s_waitcnt lgkmcnt(4)
	v_mul_f64 v[56:57], v[240:241], v[54:55]
	v_fmac_f64_e32 v[56:57], v[238:239], v[52:53]
	v_mul_f64 v[52:53], v[240:241], v[52:53]
	s_waitcnt lgkmcnt(3)
	v_mul_f64 v[240:241], v[244:245], v[50:51]
	v_fmac_f64_e32 v[240:241], v[242:243], v[48:49]
	v_mul_f64 v[48:49], v[244:245], v[48:49]
	v_fma_f64 v[50:51], v[242:243], v[50:51], -v[48:49]
	s_waitcnt lgkmcnt(1)
	v_mul_f64 v[242:243], v[232:233], v[46:47]
	v_fmac_f64_e32 v[242:243], v[230:231], v[44:45]
	v_mul_f64 v[44:45], v[232:233], v[44:45]
	s_waitcnt lgkmcnt(0)
	v_mul_f64 v[232:233], v[236:237], v[42:43]
	v_fmac_f64_e32 v[232:233], v[234:235], v[40:41]
	v_mul_f64 v[40:41], v[236:237], v[40:41]
	v_fma_f64 v[42:43], v[234:235], v[42:43], -v[40:41]
	v_add_f64 v[40:41], v[36:37], v[120:121]
	v_add_f64 v[116:117], v[40:41], v[124:125]
	v_add_f64 v[40:41], v[120:121], v[124:125]
	v_fmac_f64_e32 v[36:37], -0.5, v[40:41]
	v_add_f64 v[40:41], v[122:123], -v[112:113]
	v_fma_f64 v[108:109], s[4:5], v[40:41], v[36:37]
	v_fmac_f64_e32 v[36:37], s[2:3], v[40:41]
	v_add_f64 v[40:41], v[38:39], v[122:123]
	v_add_f64 v[118:119], v[40:41], v[112:113]
	v_add_f64 v[40:41], v[122:123], v[112:113]
	v_fmac_f64_e32 v[38:39], -0.5, v[40:41]
	v_add_f64 v[40:41], v[120:121], -v[124:125]
	v_fma_f64 v[110:111], s[2:3], v[40:41], v[38:39]
	v_fmac_f64_e32 v[38:39], s[4:5], v[40:41]
	;; [unrolled: 7-line block ×16, first 2 shown]
	v_add_f64 v[40:41], v[4:5], v[56:57]
	v_fma_f64 v[238:239], v[238:239], v[54:55], -v[52:53]
	v_add_f64 v[52:53], v[40:41], v[240:241]
	v_add_f64 v[40:41], v[56:57], v[240:241]
	v_fmac_f64_e32 v[4:5], -0.5, v[40:41]
	v_add_f64 v[40:41], v[238:239], -v[50:51]
	v_fma_f64 v[48:49], s[4:5], v[40:41], v[4:5]
	v_fmac_f64_e32 v[4:5], s[2:3], v[40:41]
	v_add_f64 v[40:41], v[6:7], v[238:239]
	v_add_f64 v[54:55], v[40:41], v[50:51]
	;; [unrolled: 1-line block ×3, first 2 shown]
	v_fmac_f64_e32 v[6:7], -0.5, v[40:41]
	v_add_f64 v[40:41], v[56:57], -v[240:241]
	v_fma_f64 v[50:51], s[2:3], v[40:41], v[6:7]
	v_fmac_f64_e32 v[6:7], s[4:5], v[40:41]
	v_add_f64 v[40:41], v[0:1], v[242:243]
	v_fma_f64 v[230:231], v[230:231], v[46:47], -v[44:45]
	v_add_f64 v[44:45], v[40:41], v[232:233]
	v_add_f64 v[40:41], v[242:243], v[232:233]
	v_fmac_f64_e32 v[0:1], -0.5, v[40:41]
	v_add_f64 v[46:47], v[230:231], -v[42:43]
	v_fma_f64 v[40:41], s[4:5], v[46:47], v[0:1]
	v_fmac_f64_e32 v[0:1], s[2:3], v[46:47]
	v_add_f64 v[46:47], v[2:3], v[230:231]
	s_barrier
	ds_write_b128 v177, v[116:119]
	ds_write_b128 v177, v[108:111] offset:4320
	ds_write_b128 v177, v[36:39] offset:8640
	;; [unrolled: 1-line block ×8, first 2 shown]
	ds_write_b128 v247, v[92:95]
	ds_write_b128 v247, v[88:91] offset:4320
	ds_write_b128 v247, v[24:27] offset:8640
	;; [unrolled: 1-line block ×8, first 2 shown]
	v_accvgpr_read_b32 v16, a42
	v_add_f64 v[46:47], v[46:47], v[42:43]
	v_add_f64 v[42:43], v[230:231], v[42:43]
	ds_write_b128 v16, v[124:127]
	ds_write_b128 v16, v[76:79] offset:4320
	ds_write_b128 v16, v[12:15] offset:8640
	v_accvgpr_read_b32 v12, a217
	v_fmac_f64_e32 v[2:3], -0.5, v[42:43]
	v_add_f64 v[56:57], v[242:243], -v[232:233]
	ds_write_b128 v12, v[66:69] offset:25920
	ds_write_b128 v12, v[128:131] offset:30240
	;; [unrolled: 1-line block ×3, first 2 shown]
	v_accvgpr_read_b32 v8, a216
	v_fma_f64 v[42:43], s[2:3], v[56:57], v[2:3]
	v_fmac_f64_e32 v[2:3], s[4:5], v[56:57]
	ds_write_b128 v8, v[52:55] offset:25920
	ds_write_b128 v8, v[48:51] offset:30240
	ds_write_b128 v8, v[4:7] offset:34560
	v_accvgpr_read_b32 v4, a43
	ds_write_b128 v4, v[44:47] offset:25920
	ds_write_b128 v4, v[40:43] offset:30240
	;; [unrolled: 1-line block ×3, first 2 shown]
	s_waitcnt lgkmcnt(0)
	s_barrier
	ds_read_b128 v[20:23], v177
	ds_read_b128 v[84:87], v177 offset:12960
	ds_read_b128 v[76:79], v177 offset:25920
	;; [unrolled: 1-line block ×29, first 2 shown]
	s_waitcnt lgkmcnt(14)
	v_mul_f64 v[120:121], v[224:225], v[86:87]
	v_fmac_f64_e32 v[120:121], v[222:223], v[84:85]
	v_mul_f64 v[84:85], v[224:225], v[84:85]
	v_fma_f64 v[84:85], v[222:223], v[86:87], -v[84:85]
	v_mul_f64 v[86:87], v[228:229], v[78:79]
	v_fmac_f64_e32 v[86:87], v[226:227], v[76:77]
	v_mul_f64 v[76:77], v[228:229], v[76:77]
	v_fma_f64 v[76:77], v[226:227], v[78:79], -v[76:77]
	v_mul_f64 v[78:79], v[216:217], v[106:107]
	v_fmac_f64_e32 v[78:79], v[214:215], v[104:105]
	v_mul_f64 v[104:105], v[216:217], v[104:105]
	v_fma_f64 v[122:123], v[214:215], v[106:107], -v[104:105]
	v_mul_f64 v[104:105], v[220:221], v[112:113]
	v_fma_f64 v[126:127], v[218:219], v[114:115], -v[104:105]
	v_mul_f64 v[104:105], v[208:209], v[116:117]
	v_fma_f64 v[130:131], v[206:207], v[118:119], -v[104:105]
	v_mul_f64 v[104:105], v[212:213], v[108:109]
	v_mul_f64 v[180:181], v[204:205], v[98:99]
	v_fma_f64 v[134:135], v[210:211], v[110:111], -v[104:105]
	v_fmac_f64_e32 v[180:181], v[202:203], v[96:97]
	v_mul_f64 v[96:97], v[204:205], v[96:97]
	s_waitcnt lgkmcnt(0)
	v_mul_f64 v[104:105], v[146:147], v[42:43]
	v_mul_f64 v[132:133], v[212:213], v[110:111]
	v_fma_f64 v[182:183], v[202:203], v[98:99], -v[96:97]
	v_mul_f64 v[96:97], v[150:151], v[54:55]
	v_fmac_f64_e32 v[104:105], v[144:145], v[40:41]
	v_mul_f64 v[40:41], v[146:147], v[40:41]
	v_fmac_f64_e32 v[132:133], v[210:211], v[108:109]
	;; [unrolled: 2-line block ×3, first 2 shown]
	v_mul_f64 v[52:53], v[150:151], v[52:53]
	v_fma_f64 v[108:109], v[144:145], v[42:43], -v[40:41]
	v_add_f64 v[40:41], v[20:21], v[120:121]
	v_fmac_f64_e32 v[184:185], v[190:191], v[92:93]
	v_mul_f64 v[92:93], v[192:193], v[92:93]
	v_fma_f64 v[106:107], v[148:149], v[54:55], -v[52:53]
	v_add_f64 v[52:53], v[40:41], v[86:87]
	v_add_f64 v[40:41], v[120:121], v[86:87]
	v_mul_f64 v[136:137], v[200:201], v[102:103]
	v_fma_f64 v[92:93], v[190:191], v[94:95], -v[92:93]
	v_mul_f64 v[94:95], v[196:197], v[90:91]
	v_fmac_f64_e32 v[20:21], -0.5, v[40:41]
	v_add_f64 v[42:43], v[84:85], -v[76:77]
	v_mul_f64 v[124:125], v[220:221], v[114:115]
	v_fmac_f64_e32 v[136:137], v[198:199], v[100:101]
	v_mul_f64 v[100:101], v[200:201], v[100:101]
	v_fmac_f64_e32 v[94:95], v[194:195], v[88:89]
	v_mul_f64 v[88:89], v[196:197], v[88:89]
	v_mul_f64 v[98:99], v[142:143], v[46:47]
	v_fma_f64 v[40:41], s[4:5], v[42:43], v[20:21]
	v_fmac_f64_e32 v[20:21], s[2:3], v[42:43]
	v_add_f64 v[42:43], v[22:23], v[84:85]
	v_fmac_f64_e32 v[124:125], v[218:219], v[112:113]
	v_fma_f64 v[138:139], v[198:199], v[102:103], -v[100:101]
	v_fma_f64 v[88:89], v[194:195], v[90:91], -v[88:89]
	v_mul_f64 v[90:91], v[174:175], v[82:83]
	v_mul_f64 v[100:101], v[154:155], v[50:51]
	v_fmac_f64_e32 v[98:99], v[140:141], v[44:45]
	v_mul_f64 v[44:45], v[142:143], v[44:45]
	v_add_f64 v[54:55], v[42:43], v[76:77]
	v_add_f64 v[42:43], v[84:85], v[76:77]
	v_mul_f64 v[128:129], v[208:209], v[118:119]
	v_fmac_f64_e32 v[90:91], v[172:173], v[80:81]
	v_mul_f64 v[80:81], v[174:175], v[80:81]
	v_mul_f64 v[174:175], v[188:189], v[74:75]
	;; [unrolled: 1-line block ×3, first 2 shown]
	v_fmac_f64_e32 v[100:101], v[152:153], v[48:49]
	v_mul_f64 v[48:49], v[154:155], v[48:49]
	v_fma_f64 v[102:103], v[140:141], v[46:47], -v[44:45]
	v_fmac_f64_e32 v[22:23], -0.5, v[42:43]
	v_add_f64 v[44:45], v[120:121], -v[86:87]
	v_add_f64 v[46:47], v[78:79], v[124:125]
	v_fmac_f64_e32 v[128:129], v[206:207], v[116:117]
	v_fmac_f64_e32 v[174:175], v[186:187], v[72:73]
	v_mul_f64 v[72:73], v[188:189], v[72:73]
	v_mul_f64 v[188:189], v[166:167], v[70:71]
	;; [unrolled: 1-line block ×3, first 2 shown]
	v_fmac_f64_e32 v[114:115], v[160:161], v[56:57]
	v_mul_f64 v[56:57], v[162:163], v[56:57]
	v_fma_f64 v[110:111], v[152:153], v[50:51], -v[48:49]
	v_fma_f64 v[42:43], s[2:3], v[44:45], v[22:23]
	v_fmac_f64_e32 v[22:23], s[4:5], v[44:45]
	v_add_f64 v[44:45], v[28:29], v[78:79]
	v_fmac_f64_e32 v[28:29], -0.5, v[46:47]
	v_add_f64 v[46:47], v[122:123], -v[126:127]
	v_add_f64 v[50:51], v[122:123], v[126:127]
	v_fmac_f64_e32 v[188:189], v[164:165], v[68:69]
	v_mul_f64 v[68:69], v[166:167], v[68:69]
	v_mul_f64 v[166:167], v[170:171], v[66:67]
	v_fmac_f64_e32 v[112:113], v[156:157], v[60:61]
	v_mul_f64 v[60:61], v[158:159], v[60:61]
	v_fma_f64 v[118:119], v[160:161], v[58:59], -v[56:57]
	v_fma_f64 v[48:49], s[4:5], v[46:47], v[28:29]
	v_fmac_f64_e32 v[28:29], s[2:3], v[46:47]
	v_add_f64 v[46:47], v[30:31], v[122:123]
	v_fmac_f64_e32 v[30:31], -0.5, v[50:51]
	v_add_f64 v[56:57], v[78:79], -v[124:125]
	v_add_f64 v[58:59], v[128:129], v[132:133]
	v_fmac_f64_e32 v[166:167], v[168:169], v[64:65]
	v_mul_f64 v[64:65], v[170:171], v[64:65]
	v_fma_f64 v[116:117], v[156:157], v[62:63], -v[60:61]
	v_fma_f64 v[50:51], s[2:3], v[56:57], v[30:31]
	v_fmac_f64_e32 v[30:31], s[4:5], v[56:57]
	v_add_f64 v[56:57], v[36:37], v[128:129]
	v_fmac_f64_e32 v[36:37], -0.5, v[58:59]
	v_add_f64 v[58:59], v[130:131], -v[134:135]
	v_add_f64 v[62:63], v[130:131], v[134:135]
	v_fma_f64 v[168:169], v[168:169], v[66:67], -v[64:65]
	v_fma_f64 v[60:61], s[4:5], v[58:59], v[36:37]
	v_fmac_f64_e32 v[36:37], s[2:3], v[58:59]
	v_add_f64 v[58:59], v[38:39], v[130:131]
	v_fmac_f64_e32 v[38:39], -0.5, v[62:63]
	v_add_f64 v[64:65], v[128:129], -v[132:133]
	v_add_f64 v[66:67], v[136:137], v[180:181]
	;; [unrolled: 7-line block ×4, first 2 shown]
	v_fma_f64 v[70:71], s[2:3], v[72:73], v[34:35]
	v_fmac_f64_e32 v[34:35], s[4:5], v[72:73]
	v_add_f64 v[72:73], v[24:25], v[184:185]
	v_fmac_f64_e32 v[24:25], -0.5, v[74:75]
	v_add_f64 v[74:75], v[92:93], -v[88:89]
	v_add_f64 v[78:79], v[92:93], v[88:89]
	v_fma_f64 v[172:173], v[172:173], v[82:83], -v[80:81]
	v_fma_f64 v[76:77], s[4:5], v[74:75], v[24:25]
	v_fmac_f64_e32 v[24:25], s[2:3], v[74:75]
	v_add_f64 v[74:75], v[26:27], v[92:93]
	v_fmac_f64_e32 v[26:27], -0.5, v[78:79]
	v_add_f64 v[80:81], v[184:185], -v[94:95]
	v_add_f64 v[82:83], v[90:91], v[174:175]
	v_fma_f64 v[78:79], s[2:3], v[80:81], v[26:27]
	v_fmac_f64_e32 v[26:27], s[4:5], v[80:81]
	v_add_f64 v[80:81], v[16:17], v[90:91]
	v_fmac_f64_e32 v[16:17], -0.5, v[82:83]
	v_add_f64 v[82:83], v[172:173], -v[186:187]
	v_add_f64 v[86:87], v[172:173], v[186:187]
	v_add_f64 v[74:75], v[74:75], v[88:89]
	v_fma_f64 v[84:85], s[4:5], v[82:83], v[16:17]
	v_fmac_f64_e32 v[16:17], s[2:3], v[82:83]
	v_add_f64 v[82:83], v[18:19], v[172:173]
	v_fmac_f64_e32 v[18:19], -0.5, v[86:87]
	v_add_f64 v[88:89], v[90:91], -v[174:175]
	v_add_f64 v[90:91], v[188:189], v[166:167]
	;; [unrolled: 7-line block ×3, first 2 shown]
	v_fma_f64 v[92:93], s[4:5], v[90:91], v[12:13]
	v_fmac_f64_e32 v[12:13], s[2:3], v[90:91]
	v_add_f64 v[90:91], v[14:15], v[164:165]
	v_fmac_f64_e32 v[14:15], -0.5, v[94:95]
	v_add_f64 v[120:121], v[188:189], -v[166:167]
	v_add_f64 v[122:123], v[112:113], v[114:115]
	v_fma_f64 v[94:95], s[2:3], v[120:121], v[14:15]
	v_fmac_f64_e32 v[14:15], s[4:5], v[120:121]
	v_add_f64 v[120:121], v[8:9], v[112:113]
	v_fmac_f64_e32 v[8:9], -0.5, v[122:123]
	v_add_f64 v[122:123], v[116:117], -v[118:119]
	v_add_f64 v[44:45], v[44:45], v[124:125]
	v_fma_f64 v[124:125], s[4:5], v[122:123], v[8:9]
	v_fmac_f64_e32 v[8:9], s[2:3], v[122:123]
	v_add_f64 v[122:123], v[10:11], v[116:117]
	v_add_f64 v[116:117], v[116:117], v[118:119]
	;; [unrolled: 1-line block ×3, first 2 shown]
	v_fmac_f64_e32 v[10:11], -0.5, v[116:117]
	v_add_f64 v[112:113], v[112:113], -v[114:115]
	v_add_f64 v[114:115], v[96:97], v[100:101]
	v_add_f64 v[46:47], v[46:47], v[126:127]
	v_fma_f64 v[126:127], s[2:3], v[112:113], v[10:11]
	v_fmac_f64_e32 v[10:11], s[4:5], v[112:113]
	v_add_f64 v[112:113], v[4:5], v[96:97]
	v_fmac_f64_e32 v[4:5], -0.5, v[114:115]
	v_add_f64 v[114:115], v[106:107], -v[110:111]
	v_fma_f64 v[116:117], s[4:5], v[114:115], v[4:5]
	v_fmac_f64_e32 v[4:5], s[2:3], v[114:115]
	v_add_f64 v[114:115], v[6:7], v[106:107]
	v_add_f64 v[106:107], v[106:107], v[110:111]
	v_fmac_f64_e32 v[6:7], -0.5, v[106:107]
	v_add_f64 v[96:97], v[96:97], -v[100:101]
	v_add_f64 v[122:123], v[122:123], v[118:119]
	v_fma_f64 v[118:119], s[2:3], v[96:97], v[6:7]
	v_fmac_f64_e32 v[6:7], s[4:5], v[96:97]
	v_add_f64 v[96:97], v[0:1], v[98:99]
	v_add_f64 v[128:129], v[96:97], v[104:105]
	;; [unrolled: 1-line block ×4, first 2 shown]
	v_fmac_f64_e32 v[0:1], -0.5, v[96:97]
	v_add_f64 v[100:101], v[102:103], -v[108:109]
	v_fma_f64 v[96:97], s[4:5], v[100:101], v[0:1]
	v_fmac_f64_e32 v[0:1], s[2:3], v[100:101]
	v_add_f64 v[100:101], v[2:3], v[102:103]
	v_add_f64 v[130:131], v[100:101], v[108:109]
	;; [unrolled: 1-line block ×3, first 2 shown]
	v_fmac_f64_e32 v[2:3], -0.5, v[100:101]
	v_add_f64 v[100:101], v[98:99], -v[104:105]
	v_fma_f64 v[98:99], s[2:3], v[100:101], v[2:3]
	v_fmac_f64_e32 v[2:3], s[4:5], v[100:101]
	v_add_f64 v[56:57], v[56:57], v[132:133]
	v_add_f64 v[58:59], v[58:59], v[134:135]
	;; [unrolled: 1-line block ×9, first 2 shown]
	ds_write_b128 v177, v[52:55]
	ds_write_b128 v177, v[40:43] offset:12960
	ds_write_b128 v177, v[20:23] offset:25920
	;; [unrolled: 1-line block ×29, first 2 shown]
	s_waitcnt lgkmcnt(0)
	s_barrier
	ds_read_b128 v[0:3], v177
	buffer_load_dword v6, off, s[36:39], 0 offset:20 ; 4-byte Folded Reload
	buffer_load_dword v7, off, s[36:39], 0 offset:24 ; 4-byte Folded Reload
	buffer_load_dword v8, off, s[36:39], 0 offset:28 ; 4-byte Folded Reload
	buffer_load_dword v9, off, s[36:39], 0 offset:32 ; 4-byte Folded Reload
	s_mov_b32 s2, 0x40e53dbc
	s_mov_b32 s3, 0x3f3af834
	s_waitcnt vmcnt(0) lgkmcnt(0)
	v_mul_f64 v[4:5], v[8:9], v[2:3]
	v_fmac_f64_e32 v[4:5], v[6:7], v[0:1]
	v_mul_f64 v[0:1], v[8:9], v[0:1]
	v_fma_f64 v[0:1], v[6:7], v[2:3], -v[0:1]
	buffer_load_dword v3, off, s[36:39], 0  ; 4-byte Folded Reload
	v_mul_f64 v[6:7], v[0:1], s[2:3]
	v_mov_b32_e32 v8, s13
	v_mul_f64 v[4:5], v[4:5], s[2:3]
	s_waitcnt vmcnt(0)
	v_mad_u64_u32 v[0:1], s[4:5], s0, v3, 0
	v_mov_b32_e32 v2, v1
	v_mad_u64_u32 v[2:3], s[4:5], s1, v3, v[2:3]
	v_mov_b32_e32 v1, v2
	v_accvgpr_read_b32 v2, a254
	v_accvgpr_read_b32 v3, a255
	v_lshlrev_b64 v[2:3], 4, v[2:3]
	v_add_co_u32_e32 v2, vcc, s12, v2
	v_addc_co_u32_e32 v3, vcc, v8, v3, vcc
	v_lshlrev_b64 v[0:1], 4, v[0:1]
	v_add_co_u32_e32 v8, vcc, v2, v0
	v_addc_co_u32_e32 v9, vcc, v3, v1, vcc
	global_store_dwordx4 v[8:9], v[4:7], off
	ds_read_b128 v[0:3], v177 offset:3888
	buffer_load_dword v10, off, s[36:39], 0 offset:36 ; 4-byte Folded Reload
	buffer_load_dword v11, off, s[36:39], 0 offset:40 ; 4-byte Folded Reload
	;; [unrolled: 1-line block ×4, first 2 shown]
	v_mad_u64_u32 v[8:9], s[4:5], s0, v179, v[8:9]
	s_mul_i32 s4, s1, 0xf30
	v_add_u32_e32 v9, s4, v9
	s_mul_i32 s1, s1, 0xffff7c60
	s_sub_i32 s1, s1, s0
	s_waitcnt vmcnt(0) lgkmcnt(0)
	v_mul_f64 v[4:5], v[12:13], v[2:3]
	v_fmac_f64_e32 v[4:5], v[10:11], v[0:1]
	v_mul_f64 v[0:1], v[12:13], v[0:1]
	v_fma_f64 v[0:1], v[10:11], v[2:3], -v[0:1]
	v_mul_f64 v[4:5], v[4:5], s[2:3]
	v_mul_f64 v[6:7], v[0:1], s[2:3]
	global_store_dwordx4 v[8:9], v[4:7], off
	ds_read_b128 v[0:3], v177 offset:7776
	buffer_load_dword v10, off, s[36:39], 0 offset:84 ; 4-byte Folded Reload
	buffer_load_dword v11, off, s[36:39], 0 offset:88 ; 4-byte Folded Reload
	buffer_load_dword v12, off, s[36:39], 0 offset:92 ; 4-byte Folded Reload
	buffer_load_dword v13, off, s[36:39], 0 offset:96 ; 4-byte Folded Reload
	v_mad_u64_u32 v[8:9], s[6:7], s0, v179, v[8:9]
	v_add_u32_e32 v9, s4, v9
	s_waitcnt vmcnt(0) lgkmcnt(0)
	v_mul_f64 v[4:5], v[12:13], v[2:3]
	v_fmac_f64_e32 v[4:5], v[10:11], v[0:1]
	v_mul_f64 v[0:1], v[12:13], v[0:1]
	v_fma_f64 v[0:1], v[10:11], v[2:3], -v[0:1]
	v_mul_f64 v[4:5], v[4:5], s[2:3]
	v_mul_f64 v[6:7], v[0:1], s[2:3]
	global_store_dwordx4 v[8:9], v[4:7], off
	ds_read_b128 v[0:3], v177 offset:11664
	buffer_load_dword v10, off, s[36:39], 0 offset:116 ; 4-byte Folded Reload
	buffer_load_dword v11, off, s[36:39], 0 offset:120 ; 4-byte Folded Reload
	buffer_load_dword v12, off, s[36:39], 0 offset:124 ; 4-byte Folded Reload
	buffer_load_dword v13, off, s[36:39], 0 offset:128 ; 4-byte Folded Reload
	v_mad_u64_u32 v[8:9], s[6:7], s0, v179, v[8:9]
	v_add_u32_e32 v9, s4, v9
	;; [unrolled: 15-line block ×7, first 2 shown]
	s_waitcnt vmcnt(0) lgkmcnt(0)
	v_mul_f64 v[4:5], v[12:13], v[2:3]
	v_fmac_f64_e32 v[4:5], v[10:11], v[0:1]
	v_mul_f64 v[0:1], v[12:13], v[0:1]
	v_fma_f64 v[0:1], v[10:11], v[2:3], -v[0:1]
	v_mul_f64 v[4:5], v[4:5], s[2:3]
	v_mul_f64 v[6:7], v[0:1], s[2:3]
	global_store_dwordx4 v[8:9], v[4:7], off
	ds_read_b128 v[0:3], v177 offset:34992
	buffer_load_dword v10, off, s[36:39], 0 offset:576 ; 4-byte Folded Reload
	buffer_load_dword v11, off, s[36:39], 0 offset:580 ; 4-byte Folded Reload
	;; [unrolled: 1-line block ×4, first 2 shown]
	s_waitcnt vmcnt(0) lgkmcnt(0)
	v_mul_f64 v[4:5], v[12:13], v[2:3]
	v_fmac_f64_e32 v[4:5], v[10:11], v[0:1]
	v_mul_f64 v[0:1], v[12:13], v[0:1]
	v_fma_f64 v[0:1], v[10:11], v[2:3], -v[0:1]
	v_mul_f64 v[6:7], v[0:1], s[2:3]
	v_mad_u64_u32 v[0:1], s[6:7], s0, v179, v[8:9]
	v_mul_f64 v[4:5], v[4:5], s[2:3]
	v_add_u32_e32 v1, s4, v1
	global_store_dwordx4 v[0:1], v[4:7], off
	ds_read_b128 v[2:5], v177 offset:1296
	buffer_load_dword v8, off, s[36:39], 0 offset:52 ; 4-byte Folded Reload
	buffer_load_dword v9, off, s[36:39], 0 offset:56 ; 4-byte Folded Reload
	;; [unrolled: 1-line block ×4, first 2 shown]
	v_mov_b32_e32 v12, 0xffff7c60
	s_waitcnt vmcnt(0) lgkmcnt(0)
	v_mul_f64 v[6:7], v[10:11], v[4:5]
	v_fmac_f64_e32 v[6:7], v[8:9], v[2:3]
	v_mul_f64 v[2:3], v[10:11], v[2:3]
	v_fma_f64 v[2:3], v[8:9], v[4:5], -v[2:3]
	v_mad_u64_u32 v[10:11], s[6:7], s0, v12, v[0:1]
	v_mul_f64 v[6:7], v[6:7], s[2:3]
	v_mul_f64 v[8:9], v[2:3], s[2:3]
	v_add_u32_e32 v11, s1, v11
	global_store_dwordx4 v[10:11], v[6:9], off
	ds_read_b128 v[0:3], v177 offset:5184
	buffer_load_dword v6, off, s[36:39], 0 offset:68 ; 4-byte Folded Reload
	buffer_load_dword v7, off, s[36:39], 0 offset:72 ; 4-byte Folded Reload
	;; [unrolled: 1-line block ×4, first 2 shown]
	s_waitcnt vmcnt(0) lgkmcnt(0)
	v_mul_f64 v[4:5], v[8:9], v[2:3]
	v_fmac_f64_e32 v[4:5], v[6:7], v[0:1]
	v_mul_f64 v[0:1], v[8:9], v[0:1]
	v_fma_f64 v[0:1], v[6:7], v[2:3], -v[0:1]
	v_mad_u64_u32 v[8:9], s[6:7], s0, v179, v[10:11]
	v_mul_f64 v[4:5], v[4:5], s[2:3]
	v_mul_f64 v[6:7], v[0:1], s[2:3]
	v_add_u32_e32 v9, s4, v9
	global_store_dwordx4 v[8:9], v[4:7], off
	ds_read_b128 v[0:3], v177 offset:9072
	buffer_load_dword v14, off, s[36:39], 0 offset:100 ; 4-byte Folded Reload
	buffer_load_dword v15, off, s[36:39], 0 offset:104 ; 4-byte Folded Reload
	buffer_load_dword v16, off, s[36:39], 0 offset:108 ; 4-byte Folded Reload
	buffer_load_dword v17, off, s[36:39], 0 offset:112 ; 4-byte Folded Reload
	v_mad_u64_u32 v[8:9], s[6:7], s0, v179, v[8:9]
	v_add_u32_e32 v9, s4, v9
	s_waitcnt vmcnt(0) lgkmcnt(0)
	v_mul_f64 v[4:5], v[16:17], v[2:3]
	v_fmac_f64_e32 v[4:5], v[14:15], v[0:1]
	v_mul_f64 v[0:1], v[16:17], v[0:1]
	v_fma_f64 v[0:1], v[14:15], v[2:3], -v[0:1]
	v_mul_f64 v[4:5], v[4:5], s[2:3]
	v_mul_f64 v[6:7], v[0:1], s[2:3]
	global_store_dwordx4 v[8:9], v[4:7], off
	ds_read_b128 v[0:3], v177 offset:12960
	buffer_load_dword v14, off, s[36:39], 0 offset:428 ; 4-byte Folded Reload
	buffer_load_dword v15, off, s[36:39], 0 offset:432 ; 4-byte Folded Reload
	buffer_load_dword v16, off, s[36:39], 0 offset:436 ; 4-byte Folded Reload
	buffer_load_dword v17, off, s[36:39], 0 offset:440 ; 4-byte Folded Reload
	v_mad_u64_u32 v[8:9], s[6:7], s0, v179, v[8:9]
	v_add_u32_e32 v9, s4, v9
	s_waitcnt vmcnt(0) lgkmcnt(0)
	v_mul_f64 v[4:5], v[16:17], v[2:3]
	v_fmac_f64_e32 v[4:5], v[14:15], v[0:1]
	v_mul_f64 v[0:1], v[16:17], v[0:1]
	v_fma_f64 v[0:1], v[14:15], v[2:3], -v[0:1]
	v_mul_f64 v[4:5], v[4:5], s[2:3]
	v_mul_f64 v[6:7], v[0:1], s[2:3]
	;; [unrolled: 15-line block ×7, first 2 shown]
	global_store_dwordx4 v[8:9], v[4:7], off
	ds_read_b128 v[0:3], v177 offset:36288
	buffer_load_dword v14, off, s[36:39], 0 offset:316 ; 4-byte Folded Reload
	buffer_load_dword v15, off, s[36:39], 0 offset:320 ; 4-byte Folded Reload
	buffer_load_dword v16, off, s[36:39], 0 offset:324 ; 4-byte Folded Reload
	buffer_load_dword v17, off, s[36:39], 0 offset:328 ; 4-byte Folded Reload
	s_waitcnt vmcnt(0) lgkmcnt(0)
	v_mul_f64 v[4:5], v[16:17], v[2:3]
	v_fmac_f64_e32 v[4:5], v[14:15], v[0:1]
	v_mul_f64 v[0:1], v[16:17], v[0:1]
	v_fma_f64 v[0:1], v[14:15], v[2:3], -v[0:1]
	v_mul_f64 v[6:7], v[0:1], s[2:3]
	v_mad_u64_u32 v[0:1], s[6:7], s0, v179, v[8:9]
	v_mul_f64 v[4:5], v[4:5], s[2:3]
	v_add_u32_e32 v1, s4, v1
	global_store_dwordx4 v[0:1], v[4:7], off
	ds_read_b128 v[2:5], v177 offset:2592
	buffer_load_dword v8, off, s[36:39], 0 offset:184 ; 4-byte Folded Reload
	buffer_load_dword v9, off, s[36:39], 0 offset:188 ; 4-byte Folded Reload
	;; [unrolled: 1-line block ×4, first 2 shown]
	s_waitcnt vmcnt(0) lgkmcnt(0)
	v_mul_f64 v[6:7], v[10:11], v[4:5]
	v_fmac_f64_e32 v[6:7], v[8:9], v[2:3]
	v_mul_f64 v[2:3], v[10:11], v[2:3]
	v_fma_f64 v[2:3], v[8:9], v[4:5], -v[2:3]
	v_mad_u64_u32 v[10:11], s[6:7], s0, v12, v[0:1]
	v_mul_f64 v[6:7], v[6:7], s[2:3]
	v_mul_f64 v[8:9], v[2:3], s[2:3]
	v_add_u32_e32 v11, s1, v11
	global_store_dwordx4 v[10:11], v[6:9], off
	ds_read_b128 v[0:3], v177 offset:6480
	buffer_load_dword v6, off, s[36:39], 0 offset:236 ; 4-byte Folded Reload
	buffer_load_dword v7, off, s[36:39], 0 offset:240 ; 4-byte Folded Reload
	buffer_load_dword v8, off, s[36:39], 0 offset:244 ; 4-byte Folded Reload
	buffer_load_dword v9, off, s[36:39], 0 offset:248 ; 4-byte Folded Reload
	s_waitcnt vmcnt(0) lgkmcnt(0)
	v_mul_f64 v[4:5], v[8:9], v[2:3]
	v_fmac_f64_e32 v[4:5], v[6:7], v[0:1]
	v_mul_f64 v[0:1], v[8:9], v[0:1]
	v_fma_f64 v[0:1], v[6:7], v[2:3], -v[0:1]
	v_mad_u64_u32 v[8:9], s[6:7], s0, v179, v[10:11]
	v_mul_f64 v[4:5], v[4:5], s[2:3]
	v_mul_f64 v[6:7], v[0:1], s[2:3]
	v_add_u32_e32 v9, s4, v9
	global_store_dwordx4 v[8:9], v[4:7], off
	ds_read_b128 v[0:3], v177 offset:10368
	buffer_load_dword v10, off, s[36:39], 0 offset:300 ; 4-byte Folded Reload
	buffer_load_dword v11, off, s[36:39], 0 offset:304 ; 4-byte Folded Reload
	buffer_load_dword v12, off, s[36:39], 0 offset:308 ; 4-byte Folded Reload
	buffer_load_dword v13, off, s[36:39], 0 offset:312 ; 4-byte Folded Reload
	v_mad_u64_u32 v[8:9], s[6:7], s0, v179, v[8:9]
	v_add_u32_e32 v9, s4, v9
	s_waitcnt vmcnt(0) lgkmcnt(0)
	v_mul_f64 v[4:5], v[12:13], v[2:3]
	v_fmac_f64_e32 v[4:5], v[10:11], v[0:1]
	v_mul_f64 v[0:1], v[12:13], v[0:1]
	v_fma_f64 v[0:1], v[10:11], v[2:3], -v[0:1]
	v_mul_f64 v[4:5], v[4:5], s[2:3]
	v_mul_f64 v[6:7], v[0:1], s[2:3]
	global_store_dwordx4 v[8:9], v[4:7], off
	ds_read_b128 v[0:3], v177 offset:14256
	buffer_load_dword v10, off, s[36:39], 0 offset:268 ; 4-byte Folded Reload
	buffer_load_dword v11, off, s[36:39], 0 offset:272 ; 4-byte Folded Reload
	buffer_load_dword v12, off, s[36:39], 0 offset:276 ; 4-byte Folded Reload
	buffer_load_dword v13, off, s[36:39], 0 offset:280 ; 4-byte Folded Reload
	v_mad_u64_u32 v[8:9], s[6:7], s0, v179, v[8:9]
	v_add_u32_e32 v9, s4, v9
	s_waitcnt vmcnt(0) lgkmcnt(0)
	v_mul_f64 v[4:5], v[12:13], v[2:3]
	v_fmac_f64_e32 v[4:5], v[10:11], v[0:1]
	v_mul_f64 v[0:1], v[12:13], v[0:1]
	v_fma_f64 v[0:1], v[10:11], v[2:3], -v[0:1]
	v_mul_f64 v[4:5], v[4:5], s[2:3]
	v_mul_f64 v[6:7], v[0:1], s[2:3]
	;; [unrolled: 15-line block ×7, first 2 shown]
	global_store_dwordx4 v[8:9], v[4:7], off
	ds_read_b128 v[0:3], v177 offset:37584
	buffer_load_dword v10, off, s[36:39], 0 offset:460 ; 4-byte Folded Reload
	buffer_load_dword v11, off, s[36:39], 0 offset:464 ; 4-byte Folded Reload
	;; [unrolled: 1-line block ×4, first 2 shown]
	s_waitcnt vmcnt(0) lgkmcnt(0)
	v_mul_f64 v[4:5], v[12:13], v[2:3]
	v_fmac_f64_e32 v[4:5], v[10:11], v[0:1]
	v_mul_f64 v[0:1], v[12:13], v[0:1]
	v_fma_f64 v[0:1], v[10:11], v[2:3], -v[0:1]
	v_mul_f64 v[6:7], v[0:1], s[2:3]
	v_mad_u64_u32 v[0:1], s[0:1], s0, v179, v[8:9]
	v_mul_f64 v[4:5], v[4:5], s[2:3]
	v_add_u32_e32 v1, s4, v1
	global_store_dwordx4 v[0:1], v[4:7], off
.LBB0_2:
	s_endpgm
	.section	.rodata,"a",@progbits
	.p2align	6, 0x0
	.amdhsa_kernel bluestein_single_fwd_len2430_dim1_dp_op_CI_CI
		.amdhsa_group_segment_fixed_size 38880
		.amdhsa_private_segment_fixed_size 828
		.amdhsa_kernarg_size 104
		.amdhsa_user_sgpr_count 6
		.amdhsa_user_sgpr_private_segment_buffer 1
		.amdhsa_user_sgpr_dispatch_ptr 0
		.amdhsa_user_sgpr_queue_ptr 0
		.amdhsa_user_sgpr_kernarg_segment_ptr 1
		.amdhsa_user_sgpr_dispatch_id 0
		.amdhsa_user_sgpr_flat_scratch_init 0
		.amdhsa_user_sgpr_kernarg_preload_length 0
		.amdhsa_user_sgpr_kernarg_preload_offset 0
		.amdhsa_user_sgpr_private_segment_size 0
		.amdhsa_uses_dynamic_stack 0
		.amdhsa_system_sgpr_private_segment_wavefront_offset 1
		.amdhsa_system_sgpr_workgroup_id_x 1
		.amdhsa_system_sgpr_workgroup_id_y 0
		.amdhsa_system_sgpr_workgroup_id_z 0
		.amdhsa_system_sgpr_workgroup_info 0
		.amdhsa_system_vgpr_workitem_id 0
		.amdhsa_next_free_vgpr 512
		.amdhsa_next_free_sgpr 40
		.amdhsa_accum_offset 256
		.amdhsa_reserve_vcc 1
		.amdhsa_reserve_flat_scratch 0
		.amdhsa_float_round_mode_32 0
		.amdhsa_float_round_mode_16_64 0
		.amdhsa_float_denorm_mode_32 3
		.amdhsa_float_denorm_mode_16_64 3
		.amdhsa_dx10_clamp 1
		.amdhsa_ieee_mode 1
		.amdhsa_fp16_overflow 0
		.amdhsa_tg_split 0
		.amdhsa_exception_fp_ieee_invalid_op 0
		.amdhsa_exception_fp_denorm_src 0
		.amdhsa_exception_fp_ieee_div_zero 0
		.amdhsa_exception_fp_ieee_overflow 0
		.amdhsa_exception_fp_ieee_underflow 0
		.amdhsa_exception_fp_ieee_inexact 0
		.amdhsa_exception_int_div_zero 0
	.end_amdhsa_kernel
	.text
.Lfunc_end0:
	.size	bluestein_single_fwd_len2430_dim1_dp_op_CI_CI, .Lfunc_end0-bluestein_single_fwd_len2430_dim1_dp_op_CI_CI
                                        ; -- End function
	.section	.AMDGPU.csdata,"",@progbits
; Kernel info:
; codeLenInByte = 45208
; NumSgprs: 44
; NumVgprs: 256
; NumAgprs: 256
; TotalNumVgprs: 512
; ScratchSize: 828
; MemoryBound: 0
; FloatMode: 240
; IeeeMode: 1
; LDSByteSize: 38880 bytes/workgroup (compile time only)
; SGPRBlocks: 5
; VGPRBlocks: 63
; NumSGPRsForWavesPerEU: 44
; NumVGPRsForWavesPerEU: 512
; AccumOffset: 256
; Occupancy: 1
; WaveLimiterHint : 1
; COMPUTE_PGM_RSRC2:SCRATCH_EN: 1
; COMPUTE_PGM_RSRC2:USER_SGPR: 6
; COMPUTE_PGM_RSRC2:TRAP_HANDLER: 0
; COMPUTE_PGM_RSRC2:TGID_X_EN: 1
; COMPUTE_PGM_RSRC2:TGID_Y_EN: 0
; COMPUTE_PGM_RSRC2:TGID_Z_EN: 0
; COMPUTE_PGM_RSRC2:TIDIG_COMP_CNT: 0
; COMPUTE_PGM_RSRC3_GFX90A:ACCUM_OFFSET: 63
; COMPUTE_PGM_RSRC3_GFX90A:TG_SPLIT: 0
	.text
	.p2alignl 6, 3212836864
	.fill 256, 4, 3212836864
	.type	__hip_cuid_db720d06c96c3d21,@object ; @__hip_cuid_db720d06c96c3d21
	.section	.bss,"aw",@nobits
	.globl	__hip_cuid_db720d06c96c3d21
__hip_cuid_db720d06c96c3d21:
	.byte	0                               ; 0x0
	.size	__hip_cuid_db720d06c96c3d21, 1

	.ident	"AMD clang version 19.0.0git (https://github.com/RadeonOpenCompute/llvm-project roc-6.4.0 25133 c7fe45cf4b819c5991fe208aaa96edf142730f1d)"
	.section	".note.GNU-stack","",@progbits
	.addrsig
	.addrsig_sym __hip_cuid_db720d06c96c3d21
	.amdgpu_metadata
---
amdhsa.kernels:
  - .agpr_count:     256
    .args:
      - .actual_access:  read_only
        .address_space:  global
        .offset:         0
        .size:           8
        .value_kind:     global_buffer
      - .actual_access:  read_only
        .address_space:  global
        .offset:         8
        .size:           8
        .value_kind:     global_buffer
      - .actual_access:  read_only
        .address_space:  global
        .offset:         16
        .size:           8
        .value_kind:     global_buffer
      - .actual_access:  read_only
        .address_space:  global
        .offset:         24
        .size:           8
        .value_kind:     global_buffer
      - .actual_access:  read_only
        .address_space:  global
        .offset:         32
        .size:           8
        .value_kind:     global_buffer
      - .offset:         40
        .size:           8
        .value_kind:     by_value
      - .address_space:  global
        .offset:         48
        .size:           8
        .value_kind:     global_buffer
      - .address_space:  global
        .offset:         56
        .size:           8
        .value_kind:     global_buffer
      - .address_space:  global
        .offset:         64
        .size:           8
        .value_kind:     global_buffer
      - .address_space:  global
        .offset:         72
        .size:           8
        .value_kind:     global_buffer
      - .offset:         80
        .size:           4
        .value_kind:     by_value
      - .address_space:  global
        .offset:         88
        .size:           8
        .value_kind:     global_buffer
      - .address_space:  global
        .offset:         96
        .size:           8
        .value_kind:     global_buffer
    .group_segment_fixed_size: 38880
    .kernarg_segment_align: 8
    .kernarg_segment_size: 104
    .language:       OpenCL C
    .language_version:
      - 2
      - 0
    .max_flat_workgroup_size: 81
    .name:           bluestein_single_fwd_len2430_dim1_dp_op_CI_CI
    .private_segment_fixed_size: 828
    .sgpr_count:     44
    .sgpr_spill_count: 0
    .symbol:         bluestein_single_fwd_len2430_dim1_dp_op_CI_CI.kd
    .uniform_work_group_size: 1
    .uses_dynamic_stack: false
    .vgpr_count:     512
    .vgpr_spill_count: 206
    .wavefront_size: 64
amdhsa.target:   amdgcn-amd-amdhsa--gfx90a
amdhsa.version:
  - 1
  - 2
...

	.end_amdgpu_metadata
